;; amdgpu-corpus repo=ROCm/rocFFT kind=compiled arch=gfx1030 opt=O3
	.text
	.amdgcn_target "amdgcn-amd-amdhsa--gfx1030"
	.amdhsa_code_object_version 6
	.protected	bluestein_single_fwd_len1260_dim1_half_op_CI_CI ; -- Begin function bluestein_single_fwd_len1260_dim1_half_op_CI_CI
	.globl	bluestein_single_fwd_len1260_dim1_half_op_CI_CI
	.p2align	8
	.type	bluestein_single_fwd_len1260_dim1_half_op_CI_CI,@function
bluestein_single_fwd_len1260_dim1_half_op_CI_CI: ; @bluestein_single_fwd_len1260_dim1_half_op_CI_CI
; %bb.0:
	s_load_dwordx4 s[8:11], s[4:5], 0x28
	v_mul_u32_u24_e32 v1, 0x411, v0
	v_mov_b32_e32 v29, 0
	s_mov_b32 s0, exec_lo
	v_lshrrev_b32_e32 v1, 16, v1
	v_add_nc_u32_e32 v28, s6, v1
	s_waitcnt lgkmcnt(0)
	v_cmpx_gt_u64_e64 s[8:9], v[28:29]
	s_cbranch_execz .LBB0_26
; %bb.1:
	s_clause 0x1
	s_load_dwordx4 s[0:3], s[4:5], 0x18
	s_load_dwordx4 s[12:15], s[4:5], 0x0
	v_mul_lo_u16 v1, v1, 63
	v_sub_nc_u16 v23, v0, v1
	v_and_b32_e32 v92, 0xffff, v23
	v_lshlrev_b32_e32 v75, 2, v92
	v_add_nc_u32_e32 v153, 0x237, v92
	v_lshlrev_b32_e32 v96, 3, v92
	s_waitcnt lgkmcnt(0)
	s_load_dwordx4 s[16:19], s[0:1], 0x0
	v_add_co_u32 v22, null, 0x17a, v92
	v_add_co_u32 v16, s0, s12, v75
	v_add_co_ci_u32_e64 v21, null, s13, 0, s0
	v_add_nc_u32_e32 v31, 0xc00, v75
	v_add_co_u32 v18, vcc_lo, 0x800, v16
	v_add_co_ci_u32_e32 v19, vcc_lo, 0, v21, vcc_lo
	s_clause 0x1
	global_load_dword v95, v75, s[12:13]
	global_load_dword v93, v[18:19], off offset:472
	v_add_nc_u32_e32 v32, 0x400, v75
	v_add_nc_u32_e32 v46, 0x600, v75
	;; [unrolled: 1-line block ×5, first 2 shown]
	s_waitcnt lgkmcnt(0)
	v_mad_u64_u32 v[0:1], null, s18, v28, 0
	v_mad_u64_u32 v[2:3], null, s16, v92, 0
	s_mul_i32 s1, s17, 0x9d8
	s_mul_hi_u32 s7, s16, 0x9d8
	s_mul_i32 s0, s16, 0x9d8
	s_add_i32 s1, s7, s1
	s_mul_hi_u32 s9, s16, 0xfffff724
	s_mul_i32 s8, s17, 0xfffff724
	v_mad_u64_u32 v[4:5], null, s19, v28, v[1:2]
	s_mul_i32 s6, s16, 0xfffff724
	s_sub_i32 s7, s9, s16
	v_and_b32_e32 v34, 1, v92
	s_add_i32 s7, s7, s8
	v_lshlrev_b32_e32 v114, 3, v22
	v_mad_u64_u32 v[5:6], null, s17, v92, v[3:4]
	v_mov_b32_e32 v1, v4
	v_lshlrev_b32_e32 v51, 2, v34
	v_lshlrev_b64 v[0:1], 2, v[0:1]
	v_mov_b32_e32 v3, v5
	v_add_co_u32 v0, vcc_lo, s10, v0
	v_lshlrev_b64 v[2:3], 2, v[2:3]
	v_add_co_ci_u32_e32 v1, vcc_lo, s11, v1, vcc_lo
	v_add_co_u32 v0, vcc_lo, v0, v2
	v_add_co_ci_u32_e32 v1, vcc_lo, v1, v3, vcc_lo
	v_add_co_u32 v2, vcc_lo, v0, s0
	v_add_co_ci_u32_e32 v3, vcc_lo, s1, v1, vcc_lo
	global_load_dword v1, v[0:1], off
	v_add_co_u32 v4, vcc_lo, v2, s6
	v_add_co_ci_u32_e32 v5, vcc_lo, s7, v3, vcc_lo
	global_load_dword v0, v[2:3], off
	;; [unrolled: 3-line block ×3, first 2 shown]
	s_clause 0x1
	global_load_dword v94, v75, s[12:13] offset:252
	global_load_dword v90, v75, s[12:13] offset:504
	global_load_dword v3, v[6:7], off
	v_add_co_u32 v4, vcc_lo, v6, s6
	v_add_co_ci_u32_e32 v5, vcc_lo, s7, v7, vcc_lo
	global_load_dword v91, v[18:19], off offset:724
	v_add_co_u32 v6, vcc_lo, v4, s0
	v_add_co_ci_u32_e32 v7, vcc_lo, s1, v5, vcc_lo
	global_load_dword v4, v[4:5], off
	v_add_co_u32 v8, vcc_lo, v6, s6
	v_add_co_ci_u32_e32 v9, vcc_lo, s7, v7, vcc_lo
	s_clause 0x2
	global_load_dword v88, v75, s[12:13] offset:756
	global_load_dword v86, v75, s[12:13] offset:1008
	global_load_dword v89, v[18:19], off offset:976
	global_load_dword v6, v[6:7], off
	global_load_dword v5, v[8:9], off
	v_add_co_u32 v7, vcc_lo, v8, s0
	v_add_co_ci_u32_e32 v8, vcc_lo, s1, v9, vcc_lo
	s_clause 0x1
	global_load_dword v87, v[18:19], off offset:1228
	global_load_dword v85, v[18:19], off offset:1480
	v_add_co_u32 v9, vcc_lo, v7, s6
	v_add_co_ci_u32_e32 v10, vcc_lo, s7, v8, vcc_lo
	global_load_dword v8, v[7:8], off
	v_add_co_u32 v11, vcc_lo, v9, s0
	v_add_co_ci_u32_e32 v12, vcc_lo, s1, v10, vcc_lo
	global_load_dword v7, v[9:10], off
	;; [unrolled: 3-line block ×4, first 2 shown]
	v_add_co_u32 v14, vcc_lo, v11, s6
	v_add_co_ci_u32_e32 v15, vcc_lo, s7, v12, vcc_lo
	s_clause 0x4
	global_load_dword v84, v75, s[12:13] offset:1260
	global_load_dword v82, v75, s[12:13] offset:1512
	;; [unrolled: 1-line block ×4, first 2 shown]
	global_load_dword v83, v[18:19], off offset:1732
	global_load_dword v17, v[11:12], off
	global_load_dword v13, v[14:15], off
	v_add_co_u32 v11, vcc_lo, v14, s0
	v_add_co_ci_u32_e32 v12, vcc_lo, s1, v15, vcc_lo
	v_add_co_u32 v20, vcc_lo, 0x1000, v16
	v_add_co_ci_u32_e32 v21, vcc_lo, 0, v21, vcc_lo
	global_load_dword v81, v[18:19], off offset:1984
	global_load_dword v14, v[11:12], off
	v_add_co_u32 v11, vcc_lo, v11, s6
	v_add_co_ci_u32_e32 v12, vcc_lo, s7, v12, vcc_lo
	global_load_dword v79, v[20:21], off offset:188
	v_add_co_u32 v24, vcc_lo, v11, s0
	v_add_co_ci_u32_e32 v25, vcc_lo, s1, v12, vcc_lo
	global_load_dword v15, v[11:12], off
	v_add_co_u32 v26, vcc_lo, v24, s6
	v_add_co_ci_u32_e32 v27, vcc_lo, s7, v25, vcc_lo
	global_load_dword v12, v[24:25], off
	v_add_co_u32 v24, vcc_lo, v26, s0
	v_add_co_ci_u32_e32 v25, vcc_lo, s1, v27, vcc_lo
	global_load_dword v16, v[26:27], off
	v_add_co_u32 v26, vcc_lo, v24, s6
	v_add_co_ci_u32_e32 v27, vcc_lo, s7, v25, vcc_lo
	global_load_dword v24, v[24:25], off
	v_add_co_u32 v29, vcc_lo, v26, s0
	v_add_co_ci_u32_e32 v30, vcc_lo, s1, v27, vcc_lo
	global_load_dword v77, v[20:21], off offset:440
	global_load_dword v25, v[26:27], off
	global_load_dword v27, v[29:30], off
	s_clause 0x1
	global_load_dword v76, v[18:19], off offset:220
	global_load_dword v74, v[20:21], off offset:692
	v_add_nc_u32_e32 v26, 0x800, v75
	v_add_nc_u32_e32 v30, 0x200, v75
	;; [unrolled: 1-line block ×3, first 2 shown]
	s_load_dwordx4 s[8:11], s[2:3], 0x0
	v_add_co_u32 v18, s0, v92, 63
	v_add_co_ci_u32_e64 v11, null, 0, 0, s0
	v_add_co_u32 v47, s0, 0x7e, v92
	v_add_co_ci_u32_e64 v11, null, 0, 0, s0
	;; [unrolled: 2-line block ×5, first 2 shown]
	v_lshlrev_b32_e32 v11, 1, v92
	v_lshlrev_b32_e32 v109, 3, v18
	;; [unrolled: 1-line block ×5, first 2 shown]
	v_and_b32_e32 v49, 1, v21
	v_lshlrev_b32_e32 v104, 3, v21
	v_lshlrev_b32_e32 v50, 2, v11
	v_and_b32_e32 v52, 1, v20
	v_add_nc_u32_e32 v156, 0x3f0, v11
	v_lshlrev_b32_e32 v54, 2, v49
	s_load_dwordx2 s[2:3], s[4:5], 0x38
	v_cmp_gt_u16_e32 vcc_lo, 42, v23
                                        ; implicit-def: $vgpr23
	s_waitcnt vmcnt(37)
	v_lshrrev_b32_e32 v35, 16, v1
	v_mul_f16_sdwa v36, v95, v1 dst_sel:DWORD dst_unused:UNUSED_PAD src0_sel:WORD_1 src1_sel:DWORD
	v_mul_f16_sdwa v37, v95, v35 dst_sel:DWORD dst_unused:UNUSED_PAD src0_sel:WORD_1 src1_sel:DWORD
	s_waitcnt vmcnt(36)
	v_lshrrev_b32_e32 v38, 16, v0
	v_mul_f16_sdwa v39, v93, v0 dst_sel:DWORD dst_unused:UNUSED_PAD src0_sel:WORD_1 src1_sel:DWORD
	v_fma_f16 v35, v95, v35, -v36
	s_waitcnt vmcnt(35)
	v_lshrrev_b32_e32 v36, 16, v2
	v_fmac_f16_e32 v37, v95, v1
	v_mul_f16_sdwa v1, v93, v38 dst_sel:DWORD dst_unused:UNUSED_PAD src0_sel:WORD_1 src1_sel:DWORD
	v_fma_f16 v38, v93, v38, -v39
	s_waitcnt vmcnt(34)
	v_mul_f16_sdwa v39, v94, v2 dst_sel:DWORD dst_unused:UNUSED_PAD src0_sel:WORD_1 src1_sel:DWORD
	v_pack_b32_f16 v35, v37, v35
	v_fmac_f16_e32 v1, v93, v0
	v_mul_f16_sdwa v0, v94, v36 dst_sel:DWORD dst_unused:UNUSED_PAD src0_sel:WORD_1 src1_sel:DWORD
	s_waitcnt vmcnt(32)
	v_lshrrev_b32_e32 v37, 16, v3
	s_waitcnt vmcnt(31)
	v_mul_f16_sdwa v40, v91, v3 dst_sel:DWORD dst_unused:UNUSED_PAD src0_sel:WORD_1 src1_sel:DWORD
	v_fma_f16 v36, v94, v36, -v39
	v_pack_b32_f16 v1, v1, v38
	v_fmac_f16_e32 v0, v94, v2
	v_mul_f16_sdwa v2, v91, v37 dst_sel:DWORD dst_unused:UNUSED_PAD src0_sel:WORD_1 src1_sel:DWORD
	s_waitcnt vmcnt(30)
	v_lshrrev_b32_e32 v38, 16, v4
	v_fma_f16 v37, v91, v37, -v40
	v_mul_f16_sdwa v39, v90, v4 dst_sel:DWORD dst_unused:UNUSED_PAD src0_sel:WORD_1 src1_sel:DWORD
	ds_write_b32 v75, v1 offset:2520
	v_pack_b32_f16 v0, v0, v36
	v_fmac_f16_e32 v2, v91, v3
	v_mul_f16_sdwa v1, v90, v38 dst_sel:DWORD dst_unused:UNUSED_PAD src0_sel:WORD_1 src1_sel:DWORD
	s_waitcnt vmcnt(26)
	v_lshrrev_b32_e32 v36, 16, v6
	v_fma_f16 v3, v90, v38, -v39
	v_mul_f16_sdwa v38, v89, v6 dst_sel:DWORD dst_unused:UNUSED_PAD src0_sel:WORD_1 src1_sel:DWORD
	ds_write2_b32 v75, v35, v0 offset1:63
	v_pack_b32_f16 v0, v2, v37
	v_fmac_f16_e32 v1, v90, v4
	v_mul_f16_sdwa v2, v89, v36 dst_sel:DWORD dst_unused:UNUSED_PAD src0_sel:WORD_1 src1_sel:DWORD
	s_waitcnt vmcnt(25)
	v_lshrrev_b32_e32 v4, 16, v5
	v_fma_f16 v35, v89, v36, -v38
	v_mul_f16_sdwa v36, v88, v5 dst_sel:DWORD dst_unused:UNUSED_PAD src0_sel:WORD_1 src1_sel:DWORD
	v_pack_b32_f16 v1, v1, v3
	v_fmac_f16_e32 v2, v89, v6
	v_mul_f16_sdwa v3, v88, v4 dst_sel:DWORD dst_unused:UNUSED_PAD src0_sel:WORD_1 src1_sel:DWORD
	s_waitcnt vmcnt(22)
	v_lshrrev_b32_e32 v6, 16, v8
	v_mul_f16_sdwa v37, v87, v8 dst_sel:DWORD dst_unused:UNUSED_PAD src0_sel:WORD_1 src1_sel:DWORD
	v_fma_f16 v4, v88, v4, -v36
	v_pack_b32_f16 v2, v2, v35
	v_fmac_f16_e32 v3, v88, v5
	v_mul_f16_sdwa v5, v87, v6 dst_sel:DWORD dst_unused:UNUSED_PAD src0_sel:WORD_1 src1_sel:DWORD
	s_waitcnt vmcnt(21)
	v_lshrrev_b32_e32 v35, 16, v7
	v_fma_f16 v6, v87, v6, -v37
	v_mul_f16_sdwa v36, v86, v7 dst_sel:DWORD dst_unused:UNUSED_PAD src0_sel:WORD_1 src1_sel:DWORD
	ds_write2_b32 v26, v0, v2 offset0:181 offset1:244
	v_pack_b32_f16 v0, v3, v4
	v_fmac_f16_e32 v5, v87, v8
	v_mul_f16_sdwa v2, v86, v35 dst_sel:DWORD dst_unused:UNUSED_PAD src0_sel:WORD_1 src1_sel:DWORD
	s_waitcnt vmcnt(20)
	v_lshrrev_b32_e32 v4, 16, v9
	v_fma_f16 v3, v86, v35, -v36
	v_mul_f16_sdwa v8, v85, v9 dst_sel:DWORD dst_unused:UNUSED_PAD src0_sel:WORD_1 src1_sel:DWORD
	ds_write2_b32 v75, v1, v0 offset0:126 offset1:189
	v_pack_b32_f16 v0, v5, v6
	v_fmac_f16_e32 v2, v86, v7
	v_mul_f16_sdwa v1, v85, v4 dst_sel:DWORD dst_unused:UNUSED_PAD src0_sel:WORD_1 src1_sel:DWORD
	s_waitcnt vmcnt(19)
	v_lshrrev_b32_e32 v5, 16, v10
	v_fma_f16 v4, v85, v4, -v8
	s_waitcnt vmcnt(18)
	v_mul_f16_sdwa v6, v84, v10 dst_sel:DWORD dst_unused:UNUSED_PAD src0_sel:WORD_1 src1_sel:DWORD
	v_pack_b32_f16 v2, v2, v3
	v_fmac_f16_e32 v1, v85, v9
	v_mul_f16_sdwa v3, v84, v5 dst_sel:DWORD dst_unused:UNUSED_PAD src0_sel:WORD_1 src1_sel:DWORD
	s_waitcnt vmcnt(13)
	v_lshrrev_b32_e32 v7, 16, v17
	v_mul_f16_sdwa v8, v83, v17 dst_sel:DWORD dst_unused:UNUSED_PAD src0_sel:WORD_1 src1_sel:DWORD
	v_fma_f16 v5, v84, v5, -v6
	v_pack_b32_f16 v1, v1, v4
	v_fmac_f16_e32 v3, v84, v10
	v_mul_f16_sdwa v4, v83, v7 dst_sel:DWORD dst_unused:UNUSED_PAD src0_sel:WORD_1 src1_sel:DWORD
	v_fma_f16 v6, v83, v7, -v8
	s_waitcnt vmcnt(12)
	v_lshrrev_b32_e32 v7, 16, v13
	v_mul_f16_sdwa v8, v82, v13 dst_sel:DWORD dst_unused:UNUSED_PAD src0_sel:WORD_1 src1_sel:DWORD
	ds_write2_b32 v31, v0, v1 offset0:51 offset1:114
	v_pack_b32_f16 v0, v3, v5
	v_fmac_f16_e32 v4, v83, v17
	v_mul_f16_sdwa v1, v82, v7 dst_sel:DWORD dst_unused:UNUSED_PAD src0_sel:WORD_1 src1_sel:DWORD
	s_waitcnt vmcnt(10)
	v_lshrrev_b32_e32 v5, 16, v14
	v_fma_f16 v3, v82, v7, -v8
	v_mul_f16_sdwa v7, v81, v14 dst_sel:DWORD dst_unused:UNUSED_PAD src0_sel:WORD_1 src1_sel:DWORD
	ds_write2_b32 v30, v2, v0 offset0:124 offset1:187
	v_pack_b32_f16 v0, v4, v6
	v_fmac_f16_e32 v1, v82, v13
	v_mul_f16_sdwa v2, v81, v5 dst_sel:DWORD dst_unused:UNUSED_PAD src0_sel:WORD_1 src1_sel:DWORD
	s_waitcnt vmcnt(8)
	v_lshrrev_b32_e32 v4, 16, v15
	v_mul_f16_sdwa v6, v80, v15 dst_sel:DWORD dst_unused:UNUSED_PAD src0_sel:WORD_1 src1_sel:DWORD
	v_fma_f16 v5, v81, v5, -v7
	v_pack_b32_f16 v1, v1, v3
	v_fmac_f16_e32 v2, v81, v14
	v_mul_f16_sdwa v3, v80, v4 dst_sel:DWORD dst_unused:UNUSED_PAD src0_sel:WORD_1 src1_sel:DWORD
	v_fma_f16 v4, v80, v4, -v6
	s_waitcnt vmcnt(7)
	v_lshrrev_b32_e32 v6, 16, v12
	v_mul_f16_sdwa v7, v79, v12 dst_sel:DWORD dst_unused:UNUSED_PAD src0_sel:WORD_1 src1_sel:DWORD
	v_pack_b32_f16 v2, v2, v5
	v_fmac_f16_e32 v3, v80, v15
	s_waitcnt vmcnt(6)
	v_lshrrev_b32_e32 v5, 16, v16
	v_mul_f16_sdwa v8, v79, v6 dst_sel:DWORD dst_unused:UNUSED_PAD src0_sel:WORD_1 src1_sel:DWORD
	v_fma_f16 v6, v79, v6, -v7
	v_mul_f16_sdwa v7, v78, v16 dst_sel:DWORD dst_unused:UNUSED_PAD src0_sel:WORD_1 src1_sel:DWORD
	s_waitcnt vmcnt(5)
	v_lshrrev_b32_e32 v9, 16, v24
	v_pack_b32_f16 v3, v3, v4
	v_mul_f16_sdwa v4, v78, v5 dst_sel:DWORD dst_unused:UNUSED_PAD src0_sel:WORD_1 src1_sel:DWORD
	s_waitcnt vmcnt(3)
	v_lshrrev_b32_e32 v10, 16, v25
	v_fma_f16 v5, v78, v5, -v7
	v_mul_f16_sdwa v7, v77, v24 dst_sel:DWORD dst_unused:UNUSED_PAD src0_sel:WORD_1 src1_sel:DWORD
	s_waitcnt vmcnt(2)
	v_lshrrev_b32_e32 v13, 16, v27
	v_fmac_f16_e32 v8, v79, v12
	v_mul_f16_sdwa v12, v77, v9 dst_sel:DWORD dst_unused:UNUSED_PAD src0_sel:WORD_1 src1_sel:DWORD
	s_waitcnt vmcnt(1)
	v_mul_f16_sdwa v14, v76, v10 dst_sel:DWORD dst_unused:UNUSED_PAD src0_sel:WORD_1 src1_sel:DWORD
	v_fma_f16 v7, v77, v9, -v7
	v_mul_f16_sdwa v9, v76, v25 dst_sel:DWORD dst_unused:UNUSED_PAD src0_sel:WORD_1 src1_sel:DWORD
	v_fmac_f16_e32 v4, v78, v16
	s_waitcnt vmcnt(0)
	v_mul_f16_sdwa v15, v74, v27 dst_sel:DWORD dst_unused:UNUSED_PAD src0_sel:WORD_1 src1_sel:DWORD
	v_mul_f16_sdwa v16, v74, v13 dst_sel:DWORD dst_unused:UNUSED_PAD src0_sel:WORD_1 src1_sel:DWORD
	v_fmac_f16_e32 v12, v77, v24
	v_fma_f16 v9, v76, v10, -v9
	v_fmac_f16_e32 v14, v76, v25
	v_fma_f16 v10, v74, v13, -v15
	v_fmac_f16_e32 v16, v74, v27
	v_pack_b32_f16 v6, v8, v6
	v_pack_b32_f16 v4, v4, v5
	;; [unrolled: 1-line block ×5, first 2 shown]
	ds_write2_b32 v31, v0, v2 offset0:177 offset1:240
	ds_write2_b32 v32, v1, v3 offset0:122 offset1:185
	ds_write2_b32 v29, v6, v5 offset0:47 offset1:110
	ds_write2_b32 v46, v4, v7 offset0:120 offset1:183
	ds_write_b32 v75, v8 offset:4788
	s_waitcnt lgkmcnt(0)
	s_barrier
	buffer_gl0_inv
	ds_read2_b32 v[0:1], v75 offset1:63
	ds_read2_b32 v[2:3], v26 offset0:118 offset1:181
	ds_read2_b32 v[4:5], v75 offset0:126 offset1:189
	;; [unrolled: 1-line block ×9, first 2 shown]
	v_and_b32_e32 v27, 1, v153
	s_waitcnt lgkmcnt(0)
	s_barrier
	buffer_gl0_inv
	v_lshlrev_b32_e32 v53, 2, v27
	v_pk_add_f16 v37, v0, v2 neg_lo:[0,1] neg_hi:[0,1]
	v_pk_add_f16 v2, v1, v3 neg_lo:[0,1] neg_hi:[0,1]
	;; [unrolled: 1-line block ×10, first 2 shown]
	v_pk_fma_f16 v36, v0, 2.0, v37 op_sel_hi:[1,0,1] neg_lo:[0,0,1] neg_hi:[0,0,1]
	v_pk_fma_f16 v1, v1, 2.0, v2 op_sel_hi:[1,0,1] neg_lo:[0,0,1] neg_hi:[0,0,1]
	;; [unrolled: 1-line block ×10, first 2 shown]
	ds_write_b64 v96, v[36:37]
	ds_write_b64 v109, v[1:2]
	;; [unrolled: 1-line block ×7, first 2 shown]
	ds_write_b64 v96, v[15:16] offset:3528
	ds_write_b64 v50, v[42:43] offset:4032
	;; [unrolled: 1-line block ×3, first 2 shown]
	v_and_b32_e32 v1, 1, v155
	v_lshlrev_b32_e32 v0, 2, v52
	s_waitcnt lgkmcnt(0)
	s_barrier
	buffer_gl0_inv
	v_lshlrev_b32_e32 v2, 2, v1
	s_clause 0x1
	global_load_dword v98, v51, s[14:15]
	global_load_dword v99, v53, s[14:15]
	v_and_b32_e32 v3, 1, v18
	s_clause 0x2
	global_load_ushort v110, v54, s[14:15] offset:2
	global_load_ushort v112, v0, s[14:15] offset:2
	;; [unrolled: 1-line block ×3, first 2 shown]
	v_lshlrev_b32_e32 v5, 1, v20
	v_lshlrev_b32_e32 v6, 1, v19
	;; [unrolled: 1-line block ×3, first 2 shown]
	s_clause 0x4
	global_load_ushort v107, v53, s[14:15] offset:2
	global_load_ushort v101, v0, s[14:15]
	global_load_ushort v106, v4, s[14:15]
	;; [unrolled: 1-line block ×4, first 2 shown]
	v_and_or_b32 v0, 0x7c, v11, v34
	v_lshlrev_b32_e32 v2, 1, v18
	v_lshlrev_b32_e32 v4, 1, v47
	;; [unrolled: 1-line block ×7, first 2 shown]
	v_and_or_b32 v0, 0xfc, v2, v3
	v_and_or_b32 v2, 0x1fc, v4, v34
	;; [unrolled: 1-line block ×9, first 2 shown]
	v_lshlrev_b32_e32 v115, 2, v0
	v_lshlrev_b32_e32 v116, 2, v2
	ds_read2_b32 v[0:1], v26 offset0:118 offset1:181
	ds_read2_b32 v[2:3], v75 offset1:63
	v_lshlrev_b32_e32 v117, 2, v4
	v_lshlrev_b32_e32 v118, 2, v5
	ds_read2_b32 v[4:5], v48 offset0:116 offset1:179
	ds_read2_b32 v[6:7], v75 offset0:126 offset1:189
	v_lshlrev_b32_e32 v119, 2, v11
	v_lshlrev_b32_e32 v120, 2, v8
	ds_read2_b32 v[8:9], v31 offset0:114 offset1:177
	ds_read2_b32 v[10:11], v30 offset0:124 offset1:187
	;; [unrolled: 4-line block ×3, first 2 shown]
	v_lshlrev_b32_e32 v123, 2, v16
	ds_read2_b32 v[16:17], v46 offset0:120 offset1:183
	ds_read2_b32 v[24:25], v29 offset0:110 offset1:173
	s_waitcnt vmcnt(0) lgkmcnt(0)
	s_barrier
	buffer_gl0_inv
	v_lshrrev_b32_e32 v27, 16, v0
	v_lshrrev_b32_e32 v34, 16, v1
	;; [unrolled: 1-line block ×20, first 2 shown]
	v_mul_f16_sdwa v54, v0, v98 dst_sel:DWORD dst_unused:UNUSED_PAD src0_sel:DWORD src1_sel:WORD_1
	v_mul_f16_sdwa v55, v27, v98 dst_sel:DWORD dst_unused:UNUSED_PAD src0_sel:DWORD src1_sel:WORD_1
	;; [unrolled: 1-line block ×6, first 2 shown]
	v_mul_f16_e32 v60, v39, v112
	v_mul_f16_e32 v61, v5, v112
	v_mul_f16_sdwa v62, v8, v98 dst_sel:DWORD dst_unused:UNUSED_PAD src0_sel:DWORD src1_sel:WORD_1
	v_mul_f16_sdwa v63, v41, v98 dst_sel:DWORD dst_unused:UNUSED_PAD src0_sel:DWORD src1_sel:WORD_1
	v_mul_f16_e32 v64, v43, v110
	v_mul_f16_e32 v65, v9, v110
	v_mul_f16_sdwa v66, v12, v98 dst_sel:DWORD dst_unused:UNUSED_PAD src0_sel:DWORD src1_sel:WORD_1
	v_mul_f16_sdwa v67, v45, v98 dst_sel:DWORD dst_unused:UNUSED_PAD src0_sel:DWORD src1_sel:WORD_1
	;; [unrolled: 4-line block ×3, first 2 shown]
	v_mul_f16_e32 v72, v52, v107
	v_mul_f16_e32 v73, v25, v107
	v_fmac_f16_e32 v54, v27, v98
	v_fma_f16 v0, v0, v98, -v55
	v_fma_f16 v1, v1, v106, -v56
	v_fmac_f16_e32 v57, v34, v106
	v_fmac_f16_e32 v58, v37, v98
	v_fma_f16 v4, v4, v98, -v59
	v_fma_f16 v5, v5, v101, -v60
	v_fmac_f16_e32 v61, v39, v101
	v_fmac_f16_e32 v62, v41, v98
	v_fma_f16 v8, v8, v98, -v63
	v_fma_f16 v9, v9, v102, -v64
	v_fmac_f16_e32 v65, v43, v102
	v_fmac_f16_e32 v66, v45, v98
	v_fma_f16 v12, v12, v98, -v67
	v_fma_f16 v13, v13, v100, -v68
	v_fmac_f16_e32 v69, v48, v100
	v_fmac_f16_e32 v70, v50, v98
	v_fma_f16 v24, v24, v98, -v71
	v_fma_f16 v25, v25, v99, -v72
	v_fmac_f16_e32 v73, v52, v99
	v_sub_f16_e32 v37, v35, v54
	v_sub_f16_e32 v0, v2, v0
	v_sub_f16_e32 v1, v3, v1
	v_sub_f16_e32 v39, v36, v57
	v_sub_f16_e32 v41, v38, v58
	v_sub_f16_e32 v4, v6, v4
	v_sub_f16_e32 v5, v7, v5
	v_sub_f16_e32 v43, v40, v61
	v_sub_f16_e32 v45, v42, v62
	v_sub_f16_e32 v8, v10, v8
	v_sub_f16_e32 v9, v11, v9
	v_sub_f16_e32 v48, v44, v65
	v_sub_f16_e32 v50, v46, v66
	v_sub_f16_e32 v12, v14, v12
	v_sub_f16_e32 v13, v15, v13
	v_sub_f16_e32 v52, v49, v69
	v_sub_f16_e32 v54, v51, v70
	v_sub_f16_e32 v24, v16, v24
	v_sub_f16_e32 v27, v17, v25
	v_sub_f16_e32 v34, v53, v73
	v_fma_f16 v35, v35, 2.0, -v37
	v_pack_b32_f16 v37, v0, v37
	v_fma_f16 v0, v2, 2.0, -v0
	v_fma_f16 v2, v3, 2.0, -v1
	;; [unrolled: 1-line block ×4, first 2 shown]
	v_pack_b32_f16 v38, v4, v41
	v_fma_f16 v4, v6, 2.0, -v4
	v_fma_f16 v6, v7, 2.0, -v5
	;; [unrolled: 1-line block ×3, first 2 shown]
	v_pack_b32_f16 v1, v1, v39
	v_pack_b32_f16 v5, v5, v43
	v_fma_f16 v39, v42, 2.0, -v45
	v_pack_b32_f16 v40, v8, v45
	v_fma_f16 v8, v10, 2.0, -v8
	v_fma_f16 v10, v11, 2.0, -v9
	v_fma_f16 v11, v44, 2.0, -v48
	v_fma_f16 v41, v46, 2.0, -v50
	v_pack_b32_f16 v42, v12, v50
	v_fma_f16 v12, v14, 2.0, -v12
	v_fma_f16 v14, v15, 2.0, -v13
	v_fma_f16 v15, v49, 2.0, -v52
	;; [unrolled: 5-line block ×3, first 2 shown]
	v_pack_b32_f16 v0, v0, v35
	v_pack_b32_f16 v2, v2, v3
	;; [unrolled: 1-line block ×13, first 2 shown]
	ds_write2_b32 v113, v0, v37 offset1:2
	ds_write2_b32 v115, v2, v1 offset1:2
	;; [unrolled: 1-line block ×10, first 2 shown]
	s_waitcnt lgkmcnt(0)
	s_barrier
	buffer_gl0_inv
	ds_read2_b32 v[16:17], v32 offset0:164 offset1:227
	ds_read2_b32 v[14:15], v31 offset0:72 offset1:135
	;; [unrolled: 1-line block ×7, first 2 shown]
	ds_read2_b32 v[4:5], v75 offset1:63
	ds_read2_b32 v[2:3], v75 offset0:126 offset1:189
                                        ; implicit-def: $vgpr26
	s_and_saveexec_b32 s0, vcc_lo
	s_cbranch_execz .LBB0_3
; %bb.2:
	ds_read_b32 v24, v75 offset:1512
	ds_read_b32 v27, v75 offset:3192
	;; [unrolled: 1-line block ×3, first 2 shown]
	s_waitcnt lgkmcnt(2)
	v_lshrrev_b32_e32 v25, 16, v24
	s_waitcnt lgkmcnt(1)
	v_lshrrev_b32_e32 v34, 16, v27
	;; [unrolled: 2-line block ×3, first 2 shown]
.LBB0_3:
	s_or_b32 exec_lo, exec_lo, s0
	v_and_b32_e32 v33, 3, v92
	v_and_b32_e32 v35, 3, v21
	;; [unrolled: 1-line block ×5, first 2 shown]
	v_lshlrev_b32_e32 v29, 3, v33
	v_lshlrev_b32_e32 v36, 3, v35
	;; [unrolled: 1-line block ×3, first 2 shown]
	v_and_b32_e32 v40, 3, v18
	v_lshlrev_b32_e32 v31, 3, v37
	s_clause 0x8
	global_load_dwordx2 v[29:30], v29, s[14:15] offset:8
	global_load_dword v128, v36, s[14:15] offset:8
	global_load_dword v130, v36, s[14:15] offset:10
	;; [unrolled: 1-line block ×6, first 2 shown]
	global_load_dwordx2 v[31:32], v31, s[14:15] offset:8
	global_load_ushort v135, v36, s[14:15] offset:14
	v_lshlrev_b32_e32 v36, 3, v39
	v_lshlrev_b32_e32 v41, 3, v40
	s_clause 0x2
	global_load_ushort v134, v38, s[14:15] offset:14
	global_load_ushort v139, v36, s[14:15] offset:8
	;; [unrolled: 1-line block ×3, first 2 shown]
	v_lshrrev_b32_e32 v58, 2, v92
	v_lshrrev_b32_e32 v60, 2, v47
	;; [unrolled: 1-line block ×6, first 2 shown]
	v_mul_u32_u24_e32 v58, 12, v58
	v_mul_u32_u24_e32 v60, 12, v60
	;; [unrolled: 1-line block ×6, first 2 shown]
	s_waitcnt lgkmcnt(8)
	v_lshrrev_b32_e32 v38, 16, v16
	s_waitcnt lgkmcnt(7)
	v_lshrrev_b32_e32 v41, 16, v14
	v_or_b32_e32 v58, v58, v33
	v_or_b32_e32 v39, v60, v39
	;; [unrolled: 1-line block ×5, first 2 shown]
	v_lshrrev_b32_e32 v43, 16, v17
	v_lshrrev_b32_e32 v44, 16, v15
	v_or_b32_e32 v40, v59, v40
	s_waitcnt lgkmcnt(4)
	v_lshrrev_b32_e32 v46, 16, v12
	v_lshrrev_b32_e32 v48, 16, v10
	;; [unrolled: 1-line block ×4, first 2 shown]
	s_waitcnt lgkmcnt(3)
	v_lshrrev_b32_e32 v53, 16, v8
	s_waitcnt lgkmcnt(2)
	v_lshrrev_b32_e32 v54, 16, v6
	v_lshrrev_b32_e32 v56, 16, v9
	v_lshrrev_b32_e32 v57, 16, v7
	v_lshlrev_b32_e32 v136, 2, v39
	v_lshlrev_b32_e32 v133, 2, v37
	;; [unrolled: 1-line block ×6, first 2 shown]
	s_waitcnt lgkmcnt(1)
	v_lshrrev_b32_e32 v36, 16, v4
	v_lshrrev_b32_e32 v42, 16, v5
	s_waitcnt lgkmcnt(0)
	v_lshrrev_b32_e32 v45, 16, v2
	v_lshrrev_b32_e32 v49, 16, v3
	;; [unrolled: 1-line block ×5, first 2 shown]
	s_waitcnt vmcnt(0)
	s_barrier
	buffer_gl0_inv
	v_mul_f16_sdwa v61, v46, v125 dst_sel:DWORD dst_unused:UNUSED_PAD src0_sel:DWORD src1_sel:WORD_1
	v_mul_f16_sdwa v33, v38, v29 dst_sel:DWORD dst_unused:UNUSED_PAD src0_sel:DWORD src1_sel:WORD_1
	;; [unrolled: 1-line block ×7, first 2 shown]
	v_lshrrev_b32_e32 v149, 16, v130
	v_mul_f16_sdwa v59, v44, v126 dst_sel:DWORD dst_unused:UNUSED_PAD src0_sel:DWORD src1_sel:WORD_1
	v_mul_f16_sdwa v60, v15, v126 dst_sel:DWORD dst_unused:UNUSED_PAD src0_sel:DWORD src1_sel:WORD_1
	;; [unrolled: 1-line block ×3, first 2 shown]
	v_lshrrev_b32_e32 v148, 16, v129
	v_mul_f16_sdwa v63, v48, v124 dst_sel:DWORD dst_unused:UNUSED_PAD src0_sel:DWORD src1_sel:WORD_1
	v_mul_f16_sdwa v64, v10, v124 dst_sel:DWORD dst_unused:UNUSED_PAD src0_sel:DWORD src1_sel:WORD_1
	;; [unrolled: 1-line block ×10, first 2 shown]
	v_mul_f16_e32 v73, v56, v130
	v_mul_f16_e32 v141, v9, v130
	;; [unrolled: 1-line block ×8, first 2 shown]
	v_fma_f16 v16, v16, v29, -v33
	v_fma_f16 v14, v14, v30, -v37
	v_fmac_f16_e32 v35, v38, v29
	v_fmac_f16_e32 v39, v41, v30
	v_fma_f16 v17, v17, v140, -v40
	v_fma_f16 v15, v15, v149, -v59
	v_fmac_f16_e32 v58, v43, v140
	v_fmac_f16_e32 v60, v44, v149
	;; [unrolled: 1-line block ×3, first 2 shown]
	v_fma_f16 v12, v12, v139, -v61
	v_fma_f16 v10, v10, v148, -v63
	v_fmac_f16_e32 v64, v48, v148
	v_fma_f16 v13, v13, v31, -v65
	v_fmac_f16_e32 v66, v50, v31
	;; [unrolled: 2-line block ×9, first 2 shown]
	v_add_f16_e32 v33, v16, v14
	v_sub_f16_e32 v34, v35, v39
	v_add_f16_e32 v37, v36, v35
	v_add_f16_e32 v35, v35, v39
	;; [unrolled: 1-line block ×7, first 2 shown]
	v_sub_f16_e32 v16, v16, v14
	v_add_f16_e32 v38, v5, v17
	v_sub_f16_e32 v41, v58, v60
	v_add_f16_e32 v43, v42, v58
	;; [unrolled: 2-line block ×3, first 2 shown]
	v_add_f16_e32 v56, v13, v11
	v_sub_f16_e32 v57, v66, v68
	v_add_f16_e32 v58, v49, v66
	v_add_f16_e32 v59, v66, v68
	;; [unrolled: 1-line block ×7, first 2 shown]
	v_sub_f16_e32 v144, v145, v147
	v_add_f16_e32 v146, v25, v145
	v_add_f16_e32 v145, v145, v147
	v_fmac_f16_e32 v36, -0.5, v35
	v_fma_f16 v4, -0.5, v33, v4
	v_sub_f16_e32 v17, v17, v15
	v_fmac_f16_e32 v5, -0.5, v40
	v_fmac_f16_e32 v42, -0.5, v44
	v_add_f16_e32 v46, v2, v12
	v_sub_f16_e32 v12, v12, v10
	v_fma_f16 v2, -0.5, v48, v2
	v_fmac_f16_e32 v45, -0.5, v53
	v_add_f16_e32 v54, v3, v13
	v_sub_f16_e32 v13, v13, v11
	v_add_f16_e32 v61, v0, v8
	v_sub_f16_e32 v63, v70, v72
	;; [unrolled: 2-line block ×6, first 2 shown]
	v_add_f16_e32 v14, v26, v14
	v_add_f16_e32 v37, v37, v39
	;; [unrolled: 1-line block ×4, first 2 shown]
	v_fmac_f16_e32 v3, -0.5, v56
	v_fmac_f16_e32 v49, -0.5, v59
	v_fma_f16 v0, -0.5, v62, v0
	v_fmac_f16_e32 v52, -0.5, v66
	v_fmac_f16_e32 v1, -0.5, v69
	;; [unrolled: 1-line block ×5, first 2 shown]
	v_fmamk_f16 v43, v34, 0x3aee, v4
	v_fmac_f16_e32 v4, 0xbaee, v34
	v_fmamk_f16 v34, v16, 0xbaee, v36
	v_fmac_f16_e32 v36, 0x3aee, v16
	;; [unrolled: 2-line block ×4, first 2 shown]
	v_add_f16_e32 v10, v46, v10
	v_add_f16_e32 v38, v51, v64
	v_fmamk_f16 v17, v50, 0x3aee, v2
	v_fmamk_f16 v44, v12, 0xbaee, v45
	v_add_f16_e32 v11, v54, v11
	v_add_f16_e32 v33, v58, v68
	;; [unrolled: 1-line block ×8, first 2 shown]
	v_fmac_f16_e32 v2, 0xbaee, v50
	v_fmac_f16_e32 v45, 0x3aee, v12
	v_fmamk_f16 v12, v57, 0x3aee, v3
	v_fmac_f16_e32 v3, 0xbaee, v57
	v_fmamk_f16 v46, v13, 0xbaee, v49
	;; [unrolled: 2-line block ×8, first 2 shown]
	v_fmac_f16_e32 v25, 0x3aee, v27
	v_pack_b32_f16 v9, v14, v37
	v_pack_b32_f16 v14, v15, v35
	;; [unrolled: 1-line block ×18, first 2 shown]
	ds_write2_b32 v138, v9, v15 offset1:4
	ds_write_b32 v138, v4 offset:32
	ds_write2_b32 v137, v14, v16 offset1:4
	ds_write_b32 v137, v5 offset:32
	;; [unrolled: 2-line block ×6, first 2 shown]
	s_and_saveexec_b32 s0, vcc_lo
	s_cbranch_execz .LBB0_5
; %bb.4:
	v_mul_u32_u24_e32 v0, 12, v127
	v_perm_b32 v1, v26, v23, 0x5040100
	v_perm_b32 v2, v51, v50, 0x5040100
	v_perm_b32 v3, v25, v24, 0x5040100
	v_or_b32_e32 v0, v0, v97
	v_lshlrev_b32_e32 v0, 2, v0
	ds_write2_b32 v0, v1, v2 offset1:4
	ds_write_b32 v0, v3 offset:32
.LBB0_5:
	s_or_b32 exec_lo, exec_lo, s0
	v_add_nc_u32_e32 v2, 0x400, v75
	v_add_nc_u32_e32 v3, 0xc00, v75
	;; [unrolled: 1-line block ×3, first 2 shown]
	s_waitcnt lgkmcnt(0)
	s_barrier
	buffer_gl0_inv
	ds_read2_b32 v[0:1], v75 offset1:63
	ds_read2_b32 v[12:13], v2 offset0:164 offset1:227
	ds_read2_b32 v[10:11], v3 offset0:72 offset1:135
	v_add_nc_u32_e32 v2, 0xe00, v75
	v_add_nc_u32_e32 v3, 0x200, v75
	;; [unrolled: 1-line block ×3, first 2 shown]
	ds_read2_b32 v[4:5], v75 offset0:126 offset1:189
	ds_read2_b32 v[16:17], v6 offset0:34 offset1:97
	;; [unrolled: 1-line block ×6, first 2 shown]
	s_and_saveexec_b32 s0, vcc_lo
	s_cbranch_execz .LBB0_7
; %bb.6:
	ds_read_b32 v23, v75 offset:1512
	ds_read_b32 v50, v75 offset:3192
	;; [unrolled: 1-line block ×3, first 2 shown]
	s_waitcnt lgkmcnt(2)
	v_lshrrev_b32_e32 v26, 16, v23
	s_waitcnt lgkmcnt(1)
	v_lshrrev_b32_e32 v51, 16, v50
	s_waitcnt lgkmcnt(0)
	v_lshrrev_b32_e32 v25, 16, v24
.LBB0_7:
	s_or_b32 exec_lo, exec_lo, s0
	v_and_b32_e32 v27, 0xff, v92
	v_and_b32_e32 v49, 0xff, v18
	;; [unrolled: 1-line block ×3, first 2 shown]
	v_mov_b32_e32 v34, 0xaaab
	v_mov_b32_e32 v141, 36
	v_mul_lo_u16 v33, 0xab, v27
	v_and_b32_e32 v27, 0xff, v20
	v_mul_lo_u16 v35, 0xab, v49
	v_mul_u32_u24_sdwa v37, v19, v34 dst_sel:DWORD dst_unused:UNUSED_PAD src0_sel:WORD_0 src1_sel:DWORD
	v_mul_u32_u24_sdwa v38, v21, v34 dst_sel:DWORD dst_unused:UNUSED_PAD src0_sel:WORD_0 src1_sel:DWORD
	v_lshrrev_b16 v52, 11, v33
	v_mul_lo_u16 v33, 0xab, v48
	v_mul_lo_u16 v36, 0xab, v27
	v_lshrrev_b16 v53, 11, v35
	v_mul_u32_u24_sdwa v34, v22, v34 dst_sel:DWORD dst_unused:UNUSED_PAD src0_sel:WORD_0 src1_sel:DWORD
	v_mul_lo_u16 v35, v52, 12
	v_lshrrev_b16 v54, 11, v33
	v_lshrrev_b16 v55, 11, v36
	v_mul_lo_u16 v33, v53, 12
	v_lshrrev_b32_e32 v60, 19, v34
	v_sub_nc_u16 v35, v92, v35
	v_mul_lo_u16 v36, v54, 12
	v_lshrrev_b32_e32 v56, 19, v37
	v_sub_nc_u16 v33, v18, v33
	v_lshrrev_b32_e32 v58, 19, v38
	v_and_b32_e32 v57, 0xff, v35
	v_mul_lo_u16 v35, v55, 12
	v_sub_nc_u16 v36, v47, v36
	v_and_b32_e32 v59, 0xff, v33
	v_mul_lo_u16 v52, v52, 36
	v_lshlrev_b32_e32 v33, 3, v57
	v_sub_nc_u16 v34, v20, v35
	v_and_b32_e32 v61, 0xff, v36
	v_lshlrev_b32_e32 v35, 3, v59
	v_mul_lo_u16 v36, v60, 12
	global_load_dwordx2 v[45:46], v33, s[14:15] offset:40
	v_and_b32_e32 v62, 0xff, v34
	v_lshlrev_b32_e32 v34, 3, v61
	global_load_dwordx2 v[43:44], v35, s[14:15] offset:40
	v_sub_nc_u16 v65, v22, v36
	s_waitcnt lgkmcnt(6)
	v_lshrrev_b32_e32 v66, 16, v10
	v_lshlrev_b32_e32 v37, 3, v62
	v_lshrrev_b32_e32 v68, 16, v13
	v_lshrrev_b32_e32 v69, 16, v11
	v_lshlrev_b16 v22, 3, v65
	s_waitcnt lgkmcnt(4)
	v_lshrrev_b32_e32 v71, 16, v16
	s_clause 0x1
	global_load_dwordx2 v[39:40], v37, s[14:15] offset:40
	global_load_dwordx2 v[41:42], v34, s[14:15] offset:40
	v_mul_lo_u16 v33, v56, 12
	v_mul_lo_u16 v35, v58, 12
	s_waitcnt lgkmcnt(3)
	v_lshrrev_b32_e32 v72, 16, v14
	v_lshrrev_b32_e32 v150, 16, v17
	;; [unrolled: 1-line block ×3, first 2 shown]
	v_sub_nc_u16 v63, v19, v33
	v_sub_nc_u16 v64, v21, v35
	v_and_b32_e32 v35, 0xffff, v22
	v_mul_u32_u24_sdwa v53, v53, v141 dst_sel:DWORD dst_unused:UNUSED_PAD src0_sel:WORD_0 src1_sel:DWORD
	v_mul_u32_u24_sdwa v54, v54, v141 dst_sel:DWORD dst_unused:UNUSED_PAD src0_sel:WORD_0 src1_sel:DWORD
	v_lshlrev_b16 v19, 3, v63
	v_lshlrev_b16 v21, 3, v64
	v_and_b32_e32 v52, 0xfc, v52
	v_mul_u32_u24_sdwa v55, v55, v141 dst_sel:DWORD dst_unused:UNUSED_PAD src0_sel:WORD_0 src1_sel:DWORD
	v_mad_u16 v56, v56, 36, v63
	v_and_b32_e32 v19, 0xffff, v19
	v_and_b32_e32 v33, 0xffff, v21
	v_mad_u16 v58, v58, 36, v64
	s_waitcnt lgkmcnt(1)
	v_lshrrev_b32_e32 v154, 16, v8
	s_waitcnt lgkmcnt(0)
	v_lshrrev_b32_e32 v157, 16, v6
	v_add_co_u32 v21, s0, s14, v19
	v_add_co_ci_u32_e64 v22, null, s15, 0, s0
	v_add_co_u32 v33, s0, s14, v33
	v_add_co_ci_u32_e64 v34, null, s15, 0, s0
	global_load_dwordx2 v[37:38], v[21:22], off offset:40
	v_add_co_u32 v21, s0, s14, v35
	v_add_co_ci_u32_e64 v22, null, s15, 0, s0
	s_clause 0x1
	global_load_dwordx2 v[35:36], v[33:34], off offset:40
	global_load_dwordx2 v[33:34], v[21:22], off offset:40
	v_lshrrev_b32_e32 v22, 16, v12
	v_mov_b32_e32 v19, 2
	v_lshrrev_b32_e32 v158, 16, v9
	v_lshrrev_b32_e32 v160, 16, v7
	v_mad_u16 v141, v60, 36, v65
	v_add_lshl_u32 v147, v52, v57, 2
	v_add_lshl_u32 v146, v53, v59, 2
	;; [unrolled: 1-line block ×4, first 2 shown]
	v_lshlrev_b32_sdwa v143, v19, v56 dst_sel:DWORD dst_unused:UNUSED_PAD src0_sel:DWORD src1_sel:WORD_0
	v_lshlrev_b32_sdwa v142, v19, v58 dst_sel:DWORD dst_unused:UNUSED_PAD src0_sel:DWORD src1_sel:WORD_0
	v_lshrrev_b32_e32 v21, 16, v0
	v_lshrrev_b32_e32 v67, 16, v1
	;; [unrolled: 1-line block ×6, first 2 shown]
	s_waitcnt vmcnt(0)
	s_barrier
	buffer_gl0_inv
	v_mul_f16_sdwa v52, v22, v45 dst_sel:DWORD dst_unused:UNUSED_PAD src0_sel:DWORD src1_sel:WORD_1
	v_mul_f16_sdwa v53, v12, v45 dst_sel:DWORD dst_unused:UNUSED_PAD src0_sel:DWORD src1_sel:WORD_1
	;; [unrolled: 1-line block ×8, first 2 shown]
	v_fma_f16 v12, v12, v45, -v52
	v_fmac_f16_e32 v53, v22, v45
	v_fma_f16 v22, v10, v46, -v54
	v_mul_f16_sdwa v64, v150, v39 dst_sel:DWORD dst_unused:UNUSED_PAD src0_sel:DWORD src1_sel:WORD_1
	v_mul_f16_sdwa v60, v71, v41 dst_sel:DWORD dst_unused:UNUSED_PAD src0_sel:DWORD src1_sel:WORD_1
	;; [unrolled: 1-line block ×8, first 2 shown]
	v_fmac_f16_e32 v55, v66, v46
	v_fma_f16 v13, v13, v43, -v56
	v_fmac_f16_e32 v57, v68, v43
	v_fma_f16 v52, v11, v44, -v58
	;; [unrolled: 2-line block ×6, first 2 shown]
	v_fmac_f16_e32 v162, v151, v40
	v_add_f16_e32 v72, v4, v16
	v_add_f16_e32 v150, v16, v14
	v_sub_f16_e32 v151, v61, v63
	v_add_f16_e32 v161, v73, v65
	v_sub_f16_e32 v16, v16, v14
	v_add_f16_e32 v14, v72, v14
	v_mul_f16_sdwa v54, v154, v37 dst_sel:DWORD dst_unused:UNUSED_PAD src0_sel:DWORD src1_sel:WORD_1
	v_mul_f16_sdwa v56, v8, v37 dst_sel:DWORD dst_unused:UNUSED_PAD src0_sel:DWORD src1_sel:WORD_1
	;; [unrolled: 1-line block ×4, first 2 shown]
	v_fma_f16 v8, v8, v37, -v54
	v_mul_f16_sdwa v62, v158, v35 dst_sel:DWORD dst_unused:UNUSED_PAD src0_sel:DWORD src1_sel:WORD_1
	v_mul_f16_sdwa v64, v9, v35 dst_sel:DWORD dst_unused:UNUSED_PAD src0_sel:DWORD src1_sel:WORD_1
	;; [unrolled: 1-line block ×8, first 2 shown]
	v_fmac_f16_e32 v56, v154, v37
	v_fma_f16 v54, v6, v38, -v58
	v_fmac_f16_e32 v60, v157, v38
	v_fma_f16 v9, v9, v35, -v62
	;; [unrolled: 2-line block ×5, first 2 shown]
	v_fmac_f16_e32 v10, v25, v34
	v_add_f16_e32 v24, v0, v12
	v_add_f16_e32 v25, v12, v22
	v_sub_f16_e32 v50, v53, v55
	v_add_f16_e32 v51, v21, v53
	v_add_f16_e32 v53, v53, v55
	;; [unrolled: 1-line block ×4, first 2 shown]
	v_sub_f16_e32 v69, v57, v59
	v_add_f16_e32 v71, v67, v57
	v_add_f16_e32 v57, v57, v59
	;; [unrolled: 1-line block ×5, first 2 shown]
	v_sub_f16_e32 v160, v65, v162
	v_add_f16_e32 v65, v65, v162
	v_sub_f16_e32 v12, v12, v22
	v_sub_f16_e32 v13, v13, v52
	v_add_f16_e32 v157, v5, v17
	v_sub_f16_e32 v17, v17, v15
	v_add_f16_e32 v22, v24, v22
	v_fma_f16 v24, -0.5, v25, v0
	v_add_f16_e32 v25, v51, v55
	v_fmac_f16_e32 v21, -0.5, v53
	v_add_f16_e32 v51, v62, v52
	v_fmac_f16_e32 v1, -0.5, v66
	;; [unrolled: 2-line block ×3, first 2 shown]
	v_fma_f16 v53, -0.5, v150, v4
	v_add_f16_e32 v55, v154, v63
	v_fmac_f16_e32 v70, -0.5, v61
	v_fmac_f16_e32 v5, -0.5, v158
	;; [unrolled: 1-line block ×3, first 2 shown]
	v_add_f16_e32 v59, v2, v8
	v_add_f16_e32 v61, v8, v54
	v_sub_f16_e32 v62, v56, v60
	v_add_f16_e32 v63, v152, v56
	v_add_f16_e32 v56, v56, v60
	v_sub_f16_e32 v71, v64, v68
	v_add_f16_e32 v72, v159, v64
	v_add_f16_e32 v64, v64, v68
	;; [unrolled: 1-line block ×3, first 2 shown]
	v_sub_f16_e32 v65, v8, v54
	v_add_f16_e32 v8, v3, v9
	v_add_f16_e32 v150, v7, v6
	v_add_f16_e32 v154, v11, v10
	v_add_f16_e32 v15, v157, v15
	v_add_f16_e32 v57, v161, v162
	v_sub_f16_e32 v9, v9, v58
	v_fmamk_f16 v161, v50, 0x3aee, v24
	v_fmac_f16_e32 v24, 0xbaee, v50
	v_fmamk_f16 v50, v12, 0xbaee, v21
	v_fmac_f16_e32 v21, 0x3aee, v12
	;; [unrolled: 2-line block ×8, first 2 shown]
	v_add_f16_e32 v17, v59, v54
	v_fma_f16 v54, -0.5, v61, v2
	v_fmac_f16_e32 v152, -0.5, v56
	v_fmac_f16_e32 v159, -0.5, v64
	;; [unrolled: 1-line block ×3, first 2 shown]
	v_sub_f16_e32 v0, v11, v10
	v_sub_f16_e32 v4, v7, v6
	v_add_f16_e32 v56, v8, v58
	v_fma_f16 v2, -0.5, v150, v23
	v_fma_f16 v8, -0.5, v154, v26
	v_add_f16_e32 v59, v63, v60
	v_pack_b32_f16 v22, v22, v25
	v_pack_b32_f16 v25, v51, v52
	;; [unrolled: 1-line block ×3, first 2 shown]
	v_fmamk_f16 v51, v62, 0x3aee, v54
	v_fmamk_f16 v52, v65, 0xbaee, v152
	;; [unrolled: 1-line block ×3, first 2 shown]
	v_fmac_f16_e32 v159, 0x3aee, v9
	v_pack_b32_f16 v9, v161, v50
	v_fmac_f16_e32 v54, 0xbaee, v62
	v_fmac_f16_e32 v152, 0x3aee, v65
	v_pack_b32_f16 v21, v24, v21
	v_add_f16_e32 v58, v72, v68
	v_pack_b32_f16 v14, v14, v55
	v_fmamk_f16 v55, v71, 0x3aee, v3
	v_pack_b32_f16 v12, v12, v69
	v_fmac_f16_e32 v3, 0xbaee, v71
	v_pack_b32_f16 v1, v1, v67
	v_fmamk_f16 v157, v0, 0xbaee, v2
	v_fmamk_f16 v158, v4, 0x3aee, v8
	v_pack_b32_f16 v13, v13, v151
	v_pack_b32_f16 v5, v5, v73
	;; [unrolled: 1-line block ×5, first 2 shown]
	ds_write2_b32 v147, v22, v9 offset1:12
	ds_write_b32 v147, v21 offset:96
	ds_write2_b32 v146, v25, v12 offset1:12
	ds_write_b32 v146, v1 offset:96
	;; [unrolled: 2-line block ×3, first 2 shown]
	ds_write2_b32 v144, v15, v16 offset1:12
	v_pack_b32_f16 v1, v51, v52
	v_pack_b32_f16 v9, v54, v152
	v_pack_b32_f16 v50, v56, v58
	v_pack_b32_f16 v12, v55, v57
	v_pack_b32_f16 v3, v3, v159
	ds_write_b32 v144, v5 offset:96
	ds_write2_b32 v143, v17, v1 offset1:12
	ds_write_b32 v143, v9 offset:96
	ds_write2_b32 v142, v50, v12 offset1:12
	ds_write_b32 v142, v3 offset:96
	s_and_saveexec_b32 s0, vcc_lo
	s_cbranch_execz .LBB0_9
; %bb.8:
	v_mul_f16_e32 v1, 0x3aee, v4
	v_add_f16_e32 v3, v26, v11
	v_add_f16_e32 v4, v23, v7
	v_mul_f16_e32 v0, 0x3aee, v0
	v_sub_f16_e32 v1, v8, v1
	v_add_f16_e32 v3, v3, v10
	v_add_f16_e32 v4, v4, v6
	;; [unrolled: 1-line block ×3, first 2 shown]
	v_lshlrev_b32_sdwa v2, v19, v141 dst_sel:DWORD dst_unused:UNUSED_PAD src0_sel:DWORD src1_sel:WORD_0
	v_pack_b32_f16 v3, v4, v3
	v_pack_b32_f16 v0, v0, v1
	v_perm_b32 v1, v158, v157, 0x5040100
	ds_write2_b32 v2, v3, v0 offset1:12
	ds_write_b32 v2, v1 offset:96
.LBB0_9:
	s_or_b32 exec_lo, exec_lo, s0
	v_add_co_u32 v0, s1, 0xffffffdc, v92
	v_cmp_gt_u16_e64 s0, 36, v92
	v_add_co_ci_u32_e64 v1, null, 0, -1, s1
	v_mul_lo_u16 v2, v49, 57
	v_mul_lo_u16 v3, v48, 57
	v_cndmask_b32_e64 v23, v0, v92, s0
	v_cndmask_b32_e64 v24, v1, 0, s0
	s_waitcnt lgkmcnt(0)
	v_lshrrev_b16 v62, 11, v2
	s_barrier
	buffer_gl0_inv
	v_lshlrev_b64 v[0:1], 4, v[23:24]
	v_lshrrev_b16 v63, 11, v3
	v_mul_lo_u16 v2, v62, 36
	v_add_nc_u32_e32 v24, 0x200, v75
	v_add_nc_u32_e32 v26, 0x600, v75
	;; [unrolled: 1-line block ×3, first 2 shown]
	v_add_co_u32 v0, s0, s14, v0
	v_add_co_ci_u32_e64 v1, s0, s15, v1, s0
	ds_read2_b32 v[52:53], v75 offset0:126 offset1:189
	v_add_nc_u32_e32 v3, 0x800, v75
	v_add_nc_u32_e32 v70, 0xc00, v75
	global_load_dwordx4 v[12:15], v[0:1], off offset:136
	v_mul_lo_u16 v1, v27, 57
	v_sub_nc_u16 v0, v18, v2
	v_mul_lo_u16 v2, v63, 36
	v_add_nc_u32_e32 v72, 0x1000, v75
	v_cmp_lt_u16_e64 s0, 35, v92
	v_lshrrev_b16 v21, 11, v1
	v_and_b32_e32 v64, 0xff, v0
	v_sub_nc_u16 v0, v47, v2
	v_mov_b32_e32 v66, 0xb4
	v_cndmask_b32_e64 v67, 0, 0xb4, s0
	v_mul_lo_u16 v2, v21, 36
	v_lshlrev_b32_e32 v1, 4, v64
	v_and_b32_e32 v65, 0xff, v0
	v_cmp_gt_u16_e64 s0, 54, v92
	v_add_lshl_u32 v150, v23, v67, 2
	v_sub_nc_u16 v0, v20, v2
	global_load_dwordx4 v[16:19], v1, s[14:15] offset:136
	v_add_nc_u32_e32 v2, 0xa00, v75
	v_add_nc_u32_e32 v20, 0x400, v75
	v_mul_u32_u24_sdwa v23, v62, v66 dst_sel:DWORD dst_unused:UNUSED_PAD src0_sel:WORD_0 src1_sel:DWORD
	v_and_b32_e32 v22, 0xff, v0
	v_mul_u32_u24_sdwa v62, v63, v66 dst_sel:DWORD dst_unused:UNUSED_PAD src0_sel:WORD_0 src1_sel:DWORD
	s_waitcnt lgkmcnt(0)
	v_lshrrev_b32_e32 v68, 16, v52
	v_lshrrev_b32_e32 v161, 16, v53
	v_add_lshl_u32 v152, v23, v64, 2
	v_lshlrev_b32_e32 v0, 4, v22
	v_add_lshl_u32 v151, v62, v65, 2
	global_load_dwordx4 v[4:7], v0, s[14:15] offset:136
	v_lshlrev_b32_e32 v1, 4, v65
	global_load_dwordx4 v[8:11], v1, s[14:15] offset:136
	ds_read2_b32 v[0:1], v75 offset1:63
	ds_read2_b32 v[24:25], v24 offset0:124 offset1:187
	ds_read2_b32 v[26:27], v26 offset0:120 offset1:183
	;; [unrolled: 1-line block ×8, first 2 shown]
	s_waitcnt vmcnt(0) lgkmcnt(0)
	s_barrier
	buffer_gl0_inv
	v_lshrrev_b32_e32 v69, 16, v24
	v_lshrrev_b32_e32 v71, 16, v26
	;; [unrolled: 1-line block ×18, first 2 shown]
	v_mul_f16_sdwa v23, v69, v12 dst_sel:DWORD dst_unused:UNUSED_PAD src0_sel:DWORD src1_sel:WORD_1
	v_mul_f16_sdwa v62, v24, v12 dst_sel:DWORD dst_unused:UNUSED_PAD src0_sel:DWORD src1_sel:WORD_1
	;; [unrolled: 1-line block ×8, first 2 shown]
	v_fma_f16 v23, v24, v12, -v23
	v_fmac_f16_e32 v62, v69, v12
	v_fma_f16 v24, v26, v13, -v64
	v_fmac_f16_e32 v65, v71, v13
	;; [unrolled: 2-line block ×4, first 2 shown]
	v_add_f16_e32 v192, v0, v23
	v_mul_f16_sdwa v50, v159, v16 dst_sel:DWORD dst_unused:UNUSED_PAD src0_sel:DWORD src1_sel:WORD_1
	v_mul_f16_sdwa v64, v25, v16 dst_sel:DWORD dst_unused:UNUSED_PAD src0_sel:DWORD src1_sel:WORD_1
	;; [unrolled: 1-line block ×8, first 2 shown]
	v_add_f16_e32 v193, v24, v26
	v_add_f16_e32 v201, v63, v62
	;; [unrolled: 1-line block ×4, first 2 shown]
	v_fma_f16 v25, v25, v16, -v50
	v_fmac_f16_e32 v64, v159, v16
	v_mul_f16_sdwa v184, v168, v4 dst_sel:DWORD dst_unused:UNUSED_PAD src0_sel:DWORD src1_sel:WORD_1
	v_mul_f16_sdwa v185, v55, v4 dst_sel:DWORD dst_unused:UNUSED_PAD src0_sel:DWORD src1_sel:WORD_1
	;; [unrolled: 1-line block ×12, first 2 shown]
	v_fma_f16 v27, v27, v17, -v69
	v_fmac_f16_e32 v71, v160, v17
	v_fma_f16 v49, v49, v18, -v73
	v_fmac_f16_e32 v154, v162, v18
	v_mul_f16_sdwa v177, v54, v8 dst_sel:DWORD dst_unused:UNUSED_PAD src0_sel:DWORD src1_sel:WORD_1
	v_mul_f16_sdwa v179, v56, v9 dst_sel:DWORD dst_unused:UNUSED_PAD src0_sel:DWORD src1_sel:WORD_1
	;; [unrolled: 1-line block ×4, first 2 shown]
	v_add_f16_e32 v198, v23, v48
	v_fma_f16 v50, v51, v19, -v172
	v_fmac_f16_e32 v174, v163, v19
	v_sub_f16_e32 v194, v62, v175
	v_sub_f16_e32 v195, v65, v173
	;; [unrolled: 1-line block ×8, first 2 shown]
	v_fma_f16 v51, v54, v8, -v176
	v_fma_f16 v54, v56, v9, -v178
	;; [unrolled: 1-line block ×5, first 2 shown]
	v_fmac_f16_e32 v185, v168, v4
	v_fma_f16 v57, v57, v5, -v186
	v_fmac_f16_e32 v187, v169, v5
	v_fma_f16 v60, v59, v6, -v188
	;; [unrolled: 2-line block ×3, first 2 shown]
	v_fmac_f16_e32 v191, v171, v7
	v_add_f16_e32 v24, v192, v24
	v_fma_f16 v73, -0.5, v193, v0
	v_add_f16_e32 v59, v201, v65
	v_fma_f16 v65, -0.5, v202, v63
	v_fmac_f16_e32 v63, -0.5, v206
	v_add_f16_e32 v61, v1, v25
	v_add_f16_e32 v160, v27, v49
	;; [unrolled: 1-line block ×4, first 2 shown]
	v_fmac_f16_e32 v177, v164, v8
	v_fmac_f16_e32 v179, v165, v9
	;; [unrolled: 1-line block ×4, first 2 shown]
	v_fma_f16 v0, -0.5, v198, v0
	v_add_f16_e32 v164, v25, v50
	v_add_f16_e32 v182, v64, v174
	v_sub_f16_e32 v197, v48, v26
	v_sub_f16_e32 v200, v26, v48
	;; [unrolled: 1-line block ×12, first 2 shown]
	v_add_f16_e32 v208, v53, v55
	v_sub_f16_e32 v212, v55, v57
	v_add_f16_e32 v214, v55, v69
	v_sub_f16_e32 v215, v57, v55
	v_sub_f16_e32 v219, v55, v69
	;; [unrolled: 1-line block ×4, first 2 shown]
	v_add_f16_e32 v24, v24, v26
	v_fmamk_f16 v26, v194, 0x3b9c, v73
	v_fmamk_f16 v225, v23, 0xbb9c, v65
	;; [unrolled: 1-line block ×3, first 2 shown]
	v_fmac_f16_e32 v63, 0xbb9c, v203
	v_add_f16_e32 v27, v61, v27
	v_fma_f16 v227, -0.5, v160, v1
	v_add_f16_e32 v61, v171, v71
	v_fma_f16 v71, -0.5, v172, v67
	v_sub_f16_e32 v207, v173, v175
	v_sub_f16_e32 v163, v50, v49
	v_add_f16_e32 v186, v52, v51
	v_add_f16_e32 v188, v54, v56
	;; [unrolled: 1-line block ×4, first 2 shown]
	v_fmamk_f16 v224, v195, 0xbb9c, v0
	v_fmac_f16_e32 v0, 0x3b9c, v195
	v_add_f16_e32 v173, v59, v173
	v_fmac_f16_e32 v1, -0.5, v164
	v_fmac_f16_e32 v67, -0.5, v182
	v_add_f16_e32 v159, v196, v197
	v_add_f16_e32 v197, v51, v58
	;; [unrolled: 1-line block ×3, first 2 shown]
	v_sub_f16_e32 v170, v49, v50
	v_sub_f16_e32 v180, v174, v154
	v_add_f16_e32 v209, v57, v60
	v_add_f16_e32 v218, v187, v189
	v_fmac_f16_e32 v73, 0xbb9c, v194
	v_fmac_f16_e32 v65, 0x3b9c, v23
	v_add_f16_e32 v64, v64, v184
	v_add_f16_e32 v184, v55, v221
	v_fmac_f16_e32 v26, 0x38b4, v195
	v_fmac_f16_e32 v225, 0xb8b4, v203
	;; [unrolled: 1-line block ×4, first 2 shown]
	v_add_f16_e32 v23, v27, v49
	v_fmamk_f16 v27, v167, 0x3b9c, v227
	v_add_f16_e32 v55, v61, v154
	v_fmamk_f16 v154, v25, 0xbb9c, v71
	v_add_f16_e32 v165, v199, v200
	v_add_f16_e32 v62, v62, v207
	v_sub_f16_e32 v190, v177, v183
	v_sub_f16_e32 v193, v51, v54
	;; [unrolled: 1-line block ×3, first 2 shown]
	v_add_f16_e32 v200, v68, v177
	v_sub_f16_e32 v51, v51, v58
	v_sub_f16_e32 v202, v54, v56
	v_add_f16_e32 v217, v161, v185
	v_add_f16_e32 v222, v185, v191
	;; [unrolled: 1-line block ×4, first 2 shown]
	v_fma_f16 v54, -0.5, v188, v52
	v_fma_f16 v160, -0.5, v201, v68
	v_fmac_f16_e32 v68, -0.5, v206
	v_add_f16_e32 v24, v24, v48
	v_fmac_f16_e32 v224, 0x38b4, v194
	v_fmac_f16_e32 v0, 0xb8b4, v194
	v_add_f16_e32 v48, v173, v175
	v_fmamk_f16 v49, v168, 0xbb9c, v1
	v_fmac_f16_e32 v1, 0x3b9c, v168
	v_fmamk_f16 v173, v176, 0x3b9c, v67
	v_fmac_f16_e32 v67, 0xbb9c, v176
	v_fmac_f16_e32 v227, 0xbb9c, v167
	;; [unrolled: 1-line block ×3, first 2 shown]
	v_sub_f16_e32 v192, v179, v181
	v_fma_f16 v52, -0.5, v197, v52
	v_sub_f16_e32 v210, v185, v191
	v_sub_f16_e32 v220, v57, v60
	v_add_f16_e32 v169, v169, v170
	v_add_f16_e32 v170, v178, v180
	;; [unrolled: 1-line block ×3, first 2 shown]
	v_fma_f16 v59, -0.5, v209, v53
	v_fma_f16 v162, -0.5, v218, v161
	v_fmac_f16_e32 v73, 0xb8b4, v195
	v_fmac_f16_e32 v65, 0x38b4, v203
	v_fmac_f16_e32 v26, 0x34f2, v159
	v_fmac_f16_e32 v225, 0x34f2, v166
	v_fmac_f16_e32 v27, 0x38b4, v168
	v_fmac_f16_e32 v154, 0xb8b4, v176
	v_sub_f16_e32 v196, v58, v56
	v_sub_f16_e32 v204, v177, v179
	;; [unrolled: 1-line block ×5, first 2 shown]
	v_add_f16_e32 v164, v200, v179
	v_fmac_f16_e32 v53, -0.5, v214
	v_add_f16_e32 v182, v217, v187
	v_fmac_f16_e32 v161, -0.5, v222
	v_fmamk_f16 v175, v190, 0x3b9c, v54
	v_fmamk_f16 v187, v51, 0xbb9c, v160
	;; [unrolled: 1-line block ×3, first 2 shown]
	v_fmac_f16_e32 v68, 0xbb9c, v202
	v_fmac_f16_e32 v224, 0x34f2, v165
	;; [unrolled: 1-line block ×11, first 2 shown]
	v_sub_f16_e32 v199, v56, v58
	v_sub_f16_e32 v177, v179, v177
	;; [unrolled: 1-line block ×3, first 2 shown]
	v_fmamk_f16 v186, v192, 0xbb9c, v52
	v_fmac_f16_e32 v52, 0x3b9c, v192
	v_fmac_f16_e32 v54, 0xbb9c, v190
	;; [unrolled: 1-line block ×3, first 2 shown]
	v_sub_f16_e32 v213, v69, v60
	v_sub_f16_e32 v216, v60, v69
	v_add_f16_e32 v56, v163, v56
	v_add_f16_e32 v57, v57, v60
	v_fmamk_f16 v60, v210, 0x3b9c, v59
	v_fmamk_f16 v163, v219, 0xbb9c, v162
	v_fmac_f16_e32 v73, 0x34f2, v159
	v_fmac_f16_e32 v65, 0x34f2, v166
	v_pack_b32_f16 v24, v24, v48
	v_add_f16_e32 v23, v23, v50
	v_add_f16_e32 v48, v55, v174
	v_pack_b32_f16 v26, v26, v225
	v_fmac_f16_e32 v27, 0x34f2, v228
	v_fmac_f16_e32 v154, 0x34f2, v170
	v_sub_f16_e32 v223, v189, v191
	v_add_f16_e32 v171, v193, v196
	v_add_f16_e32 v178, v204, v205
	;; [unrolled: 1-line block ×3, first 2 shown]
	v_fmamk_f16 v61, v211, 0xbb9c, v53
	v_fmac_f16_e32 v53, 0x3b9c, v211
	v_fmamk_f16 v164, v220, 0x3b9c, v161
	v_fmac_f16_e32 v161, 0xbb9c, v220
	v_fmac_f16_e32 v175, 0x38b4, v192
	v_fmac_f16_e32 v187, 0xb8b4, v202
	v_fmac_f16_e32 v188, 0xb8b4, v51
	v_fmac_f16_e32 v68, 0x38b4, v51
	v_pack_b32_f16 v51, v224, v226
	v_pack_b32_f16 v0, v0, v63
	v_fmac_f16_e32 v49, 0x34f2, v169
	v_fmac_f16_e32 v1, 0x34f2, v169
	;; [unrolled: 1-line block ×8, first 2 shown]
	v_add_f16_e32 v172, v198, v199
	v_add_f16_e32 v177, v177, v207
	v_fmac_f16_e32 v186, 0x38b4, v190
	v_fmac_f16_e32 v52, 0xb8b4, v190
	;; [unrolled: 1-line block ×4, first 2 shown]
	v_add_f16_e32 v179, v212, v213
	v_add_f16_e32 v182, v182, v189
	;; [unrolled: 1-line block ×3, first 2 shown]
	v_fmac_f16_e32 v60, 0x38b4, v211
	v_fmac_f16_e32 v163, 0xb8b4, v220
	v_pack_b32_f16 v56, v73, v65
	v_pack_b32_f16 v23, v23, v48
	ds_write2_b32 v150, v24, v26 offset1:36
	ds_write2_b32 v150, v51, v0 offset0:72 offset1:108
	v_pack_b32_f16 v0, v27, v154
	v_add_f16_e32 v180, v215, v216
	v_add_f16_e32 v185, v185, v223
	;; [unrolled: 1-line block ×3, first 2 shown]
	v_fmac_f16_e32 v61, 0x38b4, v210
	v_fmac_f16_e32 v53, 0xb8b4, v210
	;; [unrolled: 1-line block ×6, first 2 shown]
	v_pack_b32_f16 v24, v49, v173
	v_pack_b32_f16 v1, v1, v67
	v_fmac_f16_e32 v59, 0xb8b4, v211
	v_fmac_f16_e32 v162, 0x38b4, v220
	v_pack_b32_f16 v26, v227, v71
	v_fmac_f16_e32 v186, 0x34f2, v172
	v_fmac_f16_e32 v52, 0x34f2, v172
	;; [unrolled: 1-line block ×6, first 2 shown]
	v_add_f16_e32 v55, v57, v69
	v_add_f16_e32 v165, v182, v191
	v_fmac_f16_e32 v60, 0x34f2, v179
	v_fmac_f16_e32 v163, 0x34f2, v184
	ds_write_b32 v150, v56 offset:576
	ds_write2_b32 v152, v23, v0 offset1:36
	ds_write2_b32 v152, v24, v1 offset0:72 offset1:108
	ds_write_b32 v152, v26 offset:576
	v_mul_u32_u24_sdwa v0, v21, v66 dst_sel:DWORD dst_unused:UNUSED_PAD src0_sel:WORD_0 src1_sel:DWORD
	v_fmac_f16_e32 v61, 0x34f2, v180
	v_fmac_f16_e32 v53, 0x34f2, v180
	;; [unrolled: 1-line block ×4, first 2 shown]
	v_pack_b32_f16 v25, v25, v50
	v_pack_b32_f16 v27, v175, v187
	v_fmac_f16_e32 v59, 0x34f2, v179
	v_fmac_f16_e32 v162, 0x34f2, v184
	v_pack_b32_f16 v1, v186, v188
	v_pack_b32_f16 v21, v52, v68
	;; [unrolled: 1-line block ×3, first 2 shown]
	v_add_lshl_u32 v154, v0, v22, 2
	v_pack_b32_f16 v0, v55, v165
	v_pack_b32_f16 v22, v60, v163
	ds_write2_b32 v151, v25, v27 offset1:36
	v_pack_b32_f16 v24, v61, v164
	v_pack_b32_f16 v25, v53, v161
	;; [unrolled: 1-line block ×3, first 2 shown]
	ds_write2_b32 v151, v1, v21 offset0:72 offset1:108
	ds_write_b32 v151, v23 offset:576
	ds_write2_b32 v154, v0, v22 offset1:36
	ds_write2_b32 v154, v24, v25 offset0:72 offset1:108
	ds_write_b32 v154, v26 offset:576
	s_waitcnt lgkmcnt(0)
	s_barrier
	buffer_gl0_inv
	ds_read2_b32 v[56:57], v75 offset1:63
	ds_read2_b32 v[62:63], v75 offset0:180 offset1:243
	ds_read2_b32 v[64:65], v20 offset0:104 offset1:167
	;; [unrolled: 1-line block ×6, first 2 shown]
	s_and_saveexec_b32 s1, s0
	s_cbranch_execz .LBB0_11
; %bb.10:
	v_add_nc_u32_e32 v0, 0x100, v75
	v_add_nc_u32_e32 v1, 0x700, v75
	;; [unrolled: 1-line block ×3, first 2 shown]
	ds_read_b32 v157, v75 offset:4824
	ds_read2_b32 v[54:55], v0 offset0:62 offset1:242
	ds_read2_b32 v[60:61], v1 offset0:38 offset1:218
	;; [unrolled: 1-line block ×3, first 2 shown]
	s_waitcnt lgkmcnt(3)
	v_lshrrev_b32_e32 v158, 16, v157
	s_waitcnt lgkmcnt(2)
	v_lshrrev_b32_e32 v160, 16, v54
	v_lshrrev_b32_e32 v165, 16, v55
	s_waitcnt lgkmcnt(1)
	v_lshrrev_b32_e32 v163, 16, v60
	;; [unrolled: 3-line block ×3, first 2 shown]
	v_lshrrev_b32_e32 v162, 16, v59
	v_mov_b32_e32 v53, v58
.LBB0_11:
	s_or_b32 exec_lo, exec_lo, s1
	v_mad_u64_u32 v[0:1], null, v92, 24, s[14:15]
	v_lshlrev_b32_e32 v159, 3, v155
	v_lshlrev_b32_e32 v155, 2, v156
	v_lshlrev_b32_e32 v58, 3, v153
	s_waitcnt lgkmcnt(5)
	v_lshrrev_b32_e32 v153, 16, v62
	s_waitcnt lgkmcnt(4)
	v_lshrrev_b32_e32 v156, 16, v64
	;; [unrolled: 2-line block ×3, first 2 shown]
	s_clause 0x1
	global_load_dwordx4 v[24:27], v[0:1], off offset:712
	global_load_dwordx2 v[49:50], v[0:1], off offset:728
	v_add_co_u32 v0, s1, 0x5e8, v0
	v_add_co_ci_u32_e64 v1, s1, 0, v1, s1
	s_waitcnt lgkmcnt(2)
	v_lshrrev_b32_e32 v167, 16, v68
	s_waitcnt lgkmcnt(1)
	v_lshrrev_b32_e32 v168, 16, v70
	s_clause 0x1
	global_load_dwordx4 v[20:23], v[0:1], off offset:712
	global_load_dwordx2 v[51:52], v[0:1], off offset:728
	v_subrev_nc_u32_e32 v0, 54, v92
	s_waitcnt lgkmcnt(0)
	v_lshrrev_b32_e32 v169, 16, v72
	v_lshrrev_b32_e32 v170, 16, v63
	;; [unrolled: 1-line block ×4, first 2 shown]
	v_cndmask_b32_e64 v0, v0, v47, s0
	v_lshrrev_b32_e32 v173, 16, v69
	v_lshrrev_b32_e32 v174, 16, v71
	;; [unrolled: 1-line block ×3, first 2 shown]
	v_mul_i32_i24_e32 v1, 24, v0
	v_mul_hi_i32_i24_e32 v0, 24, v0
	v_add_co_u32 v47, s1, s14, v1
	v_add_co_ci_u32_e64 v48, s1, s15, v0, s1
	s_clause 0x1
	global_load_dwordx4 v[0:3], v[47:48], off offset:712
	global_load_dwordx2 v[47:48], v[47:48], off offset:728
	s_waitcnt vmcnt(5)
	v_mul_f16_sdwa v176, v153, v24 dst_sel:DWORD dst_unused:UNUSED_PAD src0_sel:DWORD src1_sel:WORD_1
	v_mul_f16_sdwa v177, v62, v24 dst_sel:DWORD dst_unused:UNUSED_PAD src0_sel:DWORD src1_sel:WORD_1
	;; [unrolled: 1-line block ×8, first 2 shown]
	s_waitcnt vmcnt(4)
	v_mul_f16_sdwa v184, v168, v49 dst_sel:DWORD dst_unused:UNUSED_PAD src0_sel:DWORD src1_sel:WORD_1
	v_mul_f16_sdwa v185, v70, v49 dst_sel:DWORD dst_unused:UNUSED_PAD src0_sel:DWORD src1_sel:WORD_1
	;; [unrolled: 1-line block ×4, first 2 shown]
	v_fma_f16 v62, v62, v24, -v176
	v_fmac_f16_e32 v177, v153, v24
	v_fma_f16 v64, v64, v25, -v178
	v_fmac_f16_e32 v179, v156, v25
	;; [unrolled: 2-line block ×6, first 2 shown]
	s_waitcnt vmcnt(3)
	v_mul_f16_sdwa v153, v170, v20 dst_sel:DWORD dst_unused:UNUSED_PAD src0_sel:DWORD src1_sel:WORD_1
	v_mul_f16_sdwa v156, v63, v20 dst_sel:DWORD dst_unused:UNUSED_PAD src0_sel:DWORD src1_sel:WORD_1
	;; [unrolled: 1-line block ×8, first 2 shown]
	s_waitcnt vmcnt(2)
	v_mul_f16_sdwa v180, v174, v51 dst_sel:DWORD dst_unused:UNUSED_PAD src0_sel:DWORD src1_sel:WORD_1
	v_mul_f16_sdwa v182, v71, v51 dst_sel:DWORD dst_unused:UNUSED_PAD src0_sel:DWORD src1_sel:WORD_1
	;; [unrolled: 1-line block ×4, first 2 shown]
	v_fma_f16 v63, v63, v20, -v153
	v_fmac_f16_e32 v156, v170, v20
	v_fma_f16 v65, v65, v21, -v166
	v_fmac_f16_e32 v167, v171, v21
	;; [unrolled: 2-line block ×6, first 2 shown]
	v_add_f16_e32 v153, v62, v72
	v_add_f16_e32 v166, v177, v187
	v_sub_f16_e32 v62, v62, v72
	v_sub_f16_e32 v72, v177, v187
	v_add_f16_e32 v168, v64, v70
	v_add_f16_e32 v170, v179, v185
	v_sub_f16_e32 v64, v64, v70
	v_sub_f16_e32 v70, v179, v185
	;; [unrolled: 4-line block ×3, first 2 shown]
	s_waitcnt vmcnt(1)
	v_mul_f16_sdwa v173, v165, v0 dst_sel:DWORD dst_unused:UNUSED_PAD src0_sel:DWORD src1_sel:WORD_1
	v_mul_f16_sdwa v174, v55, v0 dst_sel:DWORD dst_unused:UNUSED_PAD src0_sel:DWORD src1_sel:WORD_1
	;; [unrolled: 1-line block ×6, first 2 shown]
	s_waitcnt vmcnt(0)
	v_mul_f16_sdwa v183, v162, v47 dst_sel:DWORD dst_unused:UNUSED_PAD src0_sel:DWORD src1_sel:WORD_1
	v_mul_f16_sdwa v184, v59, v47 dst_sel:DWORD dst_unused:UNUSED_PAD src0_sel:DWORD src1_sel:WORD_1
	;; [unrolled: 1-line block ×6, first 2 shown]
	v_add_f16_e32 v188, v168, v153
	v_add_f16_e32 v189, v170, v166
	v_sub_f16_e32 v190, v168, v153
	v_sub_f16_e32 v191, v170, v166
	;; [unrolled: 1-line block ×6, first 2 shown]
	v_add_f16_e32 v192, v66, v64
	v_add_f16_e32 v193, v68, v70
	v_sub_f16_e32 v194, v66, v64
	v_sub_f16_e32 v195, v68, v70
	;; [unrolled: 1-line block ×4, first 2 shown]
	v_add_f16_e32 v64, v63, v73
	v_add_f16_e32 v197, v156, v186
	v_sub_f16_e32 v73, v63, v73
	v_sub_f16_e32 v156, v156, v186
	v_add_f16_e32 v63, v65, v71
	v_add_f16_e32 v186, v167, v182
	v_sub_f16_e32 v65, v65, v71
	v_sub_f16_e32 v71, v167, v182
	;; [unrolled: 4-line block ×3, first 2 shown]
	v_fma_f16 v169, v55, v0, -v173
	v_fmac_f16_e32 v174, v165, v0
	v_fma_f16 v165, v60, v1, -v175
	v_fmac_f16_e32 v176, v163, v1
	v_fmac_f16_e32 v179, v164, v2
	v_fma_f16 v164, v53, v3, -v180
	v_fma_f16 v59, v59, v47, -v183
	v_fmac_f16_e32 v184, v162, v47
	v_fma_f16 v53, v157, v48, -v185
	v_fmac_f16_e32 v187, v158, v48
	v_sub_f16_e32 v68, v72, v68
	v_fma_f16 v163, v61, v2, -v177
	v_fmac_f16_e32 v181, v161, v3
	v_add_f16_e32 v157, v171, v188
	v_add_f16_e32 v158, v172, v189
	;; [unrolled: 1-line block ×3, first 2 shown]
	v_mul_f16_e32 v153, 0x3a52, v153
	v_mul_f16_e32 v162, 0x3a52, v166
	;; [unrolled: 1-line block ×6, first 2 shown]
	v_add_f16_e32 v178, v63, v64
	v_add_f16_e32 v180, v186, v197
	v_sub_f16_e32 v183, v63, v64
	v_sub_f16_e32 v192, v167, v63
	v_add_f16_e32 v55, v169, v53
	v_add_f16_e32 v61, v174, v187
	;; [unrolled: 1-line block ×4, first 2 shown]
	v_sub_f16_e32 v66, v62, v66
	v_add_f16_e32 v72, v193, v72
	v_mul_f16_e32 v172, 0xb846, v194
	v_mul_f16_e32 v175, 0x3b00, v196
	v_sub_f16_e32 v185, v186, v197
	v_sub_f16_e32 v188, v64, v167
	;; [unrolled: 1-line block ×4, first 2 shown]
	v_add_f16_e32 v193, v67, v65
	v_add_f16_e32 v194, v69, v71
	v_sub_f16_e32 v195, v67, v65
	v_sub_f16_e32 v197, v69, v71
	;; [unrolled: 1-line block ×8, first 2 shown]
	v_add_f16_e32 v165, v163, v164
	v_add_f16_e32 v169, v179, v181
	v_sub_f16_e32 v163, v164, v163
	v_sub_f16_e32 v164, v181, v179
	v_add_f16_e32 v174, v56, v157
	v_add_f16_sdwa v176, v56, v158 dst_sel:DWORD dst_unused:UNUSED_PAD src0_sel:WORD_1 src1_sel:DWORD
	v_fmamk_f16 v170, v170, 0x2b26, v162
	v_fma_f16 v166, v190, 0x39e0, -v166
	v_fma_f16 v171, v191, 0x39e0, -v171
	;; [unrolled: 1-line block ×4, first 2 shown]
	v_fmamk_f16 v184, v68, 0x3574, v173
	v_fma_f16 v173, v70, 0x3b00, -v173
	v_fma_f16 v177, v68, 0xb574, -v177
	v_add_f16_e32 v167, v167, v178
	v_add_f16_e32 v178, v182, v180
	;; [unrolled: 1-line block ×4, first 2 shown]
	v_sub_f16_e32 v198, v73, v67
	v_sub_f16_e32 v69, v156, v69
	v_fmamk_f16 v168, v168, 0x2b26, v153
	v_fmamk_f16 v181, v66, 0x3574, v172
	v_fma_f16 v172, v196, 0x3b00, -v172
	v_fma_f16 v175, v66, 0xb574, -v175
	v_add_f16_e32 v180, v193, v73
	v_add_f16_e32 v156, v194, v156
	v_mul_f16_e32 v68, 0x3a52, v188
	v_mul_f16_e32 v70, 0x3a52, v189
	;; [unrolled: 1-line block ×8, first 2 shown]
	v_sub_f16_e32 v193, v55, v165
	v_sub_f16_e32 v194, v61, v169
	;; [unrolled: 1-line block ×4, first 2 shown]
	v_add_f16_e32 v195, v163, v64
	v_add_f16_e32 v196, v164, v59
	v_sub_f16_e32 v65, v163, v64
	v_sub_f16_e32 v56, v164, v59
	;; [unrolled: 1-line block ×4, first 2 shown]
	v_fmamk_f16 v157, v157, 0xbcab, v174
	v_fmamk_f16 v197, v158, 0xbcab, v176
	v_fmac_f16_e32 v184, 0x370e, v72
	v_fmac_f16_e32 v173, 0x370e, v72
	;; [unrolled: 1-line block ×3, first 2 shown]
	v_add_f16_e32 v72, v57, v167
	v_add_f16_sdwa v57, v57, v178 dst_sel:DWORD dst_unused:UNUSED_PAD src0_sel:WORD_1 src1_sel:DWORD
	v_add_f16_e32 v165, v165, v190
	v_add_f16_e32 v169, v169, v191
	v_fmac_f16_e32 v181, 0x370e, v161
	v_fmac_f16_e32 v172, 0x370e, v161
	;; [unrolled: 1-line block ×3, first 2 shown]
	v_fmamk_f16 v161, v192, 0x2b26, v68
	v_fmamk_f16 v186, v186, 0x2b26, v70
	v_fma_f16 v192, v183, 0x39e0, -v73
	v_fma_f16 v200, v185, 0x39e0, -v153
	;; [unrolled: 1-line block ×4, first 2 shown]
	v_fmamk_f16 v201, v198, 0x3574, v182
	v_fmamk_f16 v202, v69, 0x3574, v187
	v_fma_f16 v182, v199, 0x3b00, -v182
	v_fma_f16 v71, v71, 0x3b00, -v187
	;; [unrolled: 1-line block ×4, first 2 shown]
	v_mul_f16_e32 v69, 0x3a52, v193
	v_mul_f16_e32 v70, 0x3a52, v194
	;; [unrolled: 1-line block ×4, first 2 shown]
	v_add_f16_e32 v163, v168, v157
	v_add_f16_e32 v164, v170, v197
	;; [unrolled: 1-line block ×6, first 2 shown]
	v_fmamk_f16 v167, v167, 0xbcab, v72
	v_fmamk_f16 v171, v178, 0xbcab, v57
	v_pack_b32_f16 v72, v72, v57
	v_add_f16_e32 v54, v54, v165
	v_add_f16_e32 v57, v160, v169
	v_pack_b32_f16 v174, v174, v176
	v_add_f16_e32 v158, v195, v62
	v_add_f16_e32 v73, v196, v53
	v_fmac_f16_e32 v201, 0x370e, v180
	v_fmac_f16_e32 v202, 0x370e, v156
	;; [unrolled: 1-line block ×6, first 2 shown]
	v_fmamk_f16 v176, v66, 0x2b26, v69
	v_fmamk_f16 v178, v67, 0x2b26, v70
	;; [unrolled: 1-line block ×4, first 2 shown]
	v_add_f16_e32 v179, v184, v163
	v_sub_f16_e32 v180, v164, v181
	v_add_f16_e32 v189, v177, v170
	v_sub_f16_e32 v190, v162, v175
	v_sub_f16_e32 v191, v166, v173
	v_add_f16_e32 v193, v172, v168
	v_add_f16_e32 v166, v173, v166
	v_sub_f16_e32 v168, v168, v172
	v_sub_f16_e32 v170, v170, v177
	v_add_f16_e32 v162, v175, v162
	v_sub_f16_e32 v163, v163, v184
	v_add_f16_e32 v164, v181, v164
	v_add_f16_e32 v172, v161, v167
	;; [unrolled: 1-line block ×5, first 2 shown]
	v_fmamk_f16 v160, v165, 0xbcab, v54
	v_fmamk_f16 v161, v169, 0xbcab, v57
	v_add_f16_e32 v167, v183, v167
	v_add_f16_e32 v171, v185, v171
	v_fmac_f16_e32 v156, 0x370e, v158
	v_fmac_f16_e32 v157, 0x370e, v73
	v_add_f16_e32 v165, v202, v172
	v_sub_f16_e32 v169, v173, v201
	v_sub_f16_e32 v184, v175, v71
	v_add_f16_e32 v185, v182, v177
	v_add_f16_e32 v71, v71, v175
	v_sub_f16_e32 v175, v177, v182
	v_pack_b32_f16 v177, v179, v180
	v_pack_b32_f16 v166, v166, v168
	;; [unrolled: 1-line block ×4, first 2 shown]
	v_add_f16_e32 v162, v176, v160
	v_add_f16_e32 v163, v178, v161
	;; [unrolled: 1-line block ×3, first 2 shown]
	v_sub_f16_e32 v183, v171, v187
	v_pack_b32_f16 v179, v189, v190
	v_pack_b32_f16 v180, v191, v193
	v_sub_f16_e32 v167, v167, v188
	v_add_f16_e32 v171, v187, v171
	v_sub_f16_e32 v172, v172, v202
	v_add_f16_e32 v173, v201, v173
	ds_write_b32 v75, v177 offset:720
	ds_write_b32 v75, v179 offset:1440
	;; [unrolled: 1-line block ×6, first 2 shown]
	ds_write2_b32 v75, v174, v72 offset1:63
	v_pack_b32_f16 v164, v165, v169
	v_pack_b32_f16 v168, v71, v175
	v_sub_f16_e32 v71, v162, v157
	v_add_f16_e32 v72, v156, v163
	v_pack_b32_f16 v165, v181, v183
	v_pack_b32_f16 v166, v184, v185
	;; [unrolled: 1-line block ×4, first 2 shown]
	ds_write_b32 v75, v164 offset:972
	ds_write_b32 v75, v165 offset:1692
	;; [unrolled: 1-line block ×6, first 2 shown]
	s_and_saveexec_b32 s1, s0
	s_cbranch_execz .LBB0_13
; %bb.12:
	v_mul_f16_e32 v67, 0x2b26, v67
	v_sub_f16_e32 v62, v64, v62
	v_sub_f16_e32 v61, v63, v61
	v_mul_f16_e32 v63, 0xb846, v65
	v_mul_f16_e32 v66, 0x2b26, v66
	v_sub_f16_e32 v55, v60, v55
	v_sub_f16_e32 v53, v59, v53
	v_mul_f16_e32 v56, 0xb846, v56
	v_mul_f16_e32 v158, 0x370e, v158
	v_fma_f16 v64, v62, 0xbb00, -v153
	v_fma_f16 v65, v61, 0xb9e0, -v70
	;; [unrolled: 1-line block ×4, first 2 shown]
	v_mul_f16_e32 v60, 0x370e, v73
	v_fma_f16 v69, v55, 0xb9e0, -v69
	v_fma_f16 v68, v53, 0xbb00, -v68
	;; [unrolled: 1-line block ×4, first 2 shown]
	v_add_f16_e32 v61, v61, v161
	v_add_f16_e32 v62, v158, v62
	;; [unrolled: 1-line block ×8, first 2 shown]
	v_sub_f16_e32 v66, v61, v62
	v_add_f16_e32 v61, v62, v61
	v_sub_f16_e32 v62, v163, v156
	v_add_f16_e32 v68, v157, v162
	v_add_f16_e32 v60, v59, v64
	v_sub_f16_e32 v63, v65, v56
	v_add_f16_e32 v67, v53, v55
	v_sub_f16_e32 v59, v64, v59
	v_add_f16_e32 v56, v56, v65
	v_sub_f16_e32 v53, v55, v53
	v_perm_b32 v54, v57, v54, 0x5040100
	v_pack_b32_f16 v55, v68, v62
	v_add_nc_u32_e32 v57, 0x100, v75
	v_pack_b32_f16 v56, v56, v59
	v_pack_b32_f16 v53, v53, v61
	v_add_nc_u32_e32 v59, 0x700, v75
	v_pack_b32_f16 v61, v67, v66
	v_pack_b32_f16 v60, v63, v60
	v_add_nc_u32_e32 v62, 0xd00, v75
	v_perm_b32 v63, v72, v71, 0x5040100
	ds_write2_b32 v57, v54, v55 offset0:62 offset1:242
	ds_write2_b32 v59, v56, v53 offset0:38 offset1:218
	;; [unrolled: 1-line block ×3, first 2 shown]
	ds_write_b32 v75, v63 offset:4824
.LBB0_13:
	s_or_b32 exec_lo, exec_lo, s1
	v_lshlrev_b32_e32 v53, 2, v92
	s_waitcnt lgkmcnt(0)
	s_barrier
	buffer_gl0_inv
	v_add_nc_u32_e32 v179, 0xa00, v75
	v_add_co_u32 v57, s1, s12, v53
	v_add_co_ci_u32_e64 v60, null, s13, 0, s1
	v_add_nc_u32_e32 v180, 0x400, v75
	v_add_co_u32 v53, s1, 0x1000, v57
	v_add_co_ci_u32_e64 v54, s1, 0, v60, s1
	v_add_nc_u32_e32 v181, 0x600, v75
	global_load_dword v61, v[53:54], off offset:944
	v_add_co_u32 v53, s1, 0x13b0, v57
	v_add_co_ci_u32_e64 v54, s1, 0, v60, s1
	v_add_co_u32 v55, s1, 0x1800, v57
	v_add_co_ci_u32_e64 v56, s1, 0, v60, s1
	global_load_dword v67, v[53:54], off offset:252
	v_add_co_u32 v59, s1, 0x2000, v57
	s_clause 0x2
	global_load_dword v73, v[55:56], off offset:1416
	global_load_dword v153, v[55:56], off offset:1668
	global_load_dword v158, v[53:54], off offset:504
	v_add_co_ci_u32_e64 v60, s1, 0, v60, s1
	s_clause 0xe
	global_load_dword v164, v[55:56], off offset:1920
	global_load_dword v165, v[53:54], off offset:756
	;; [unrolled: 1-line block ×15, first 2 shown]
	ds_read2_b32 v[55:56], v75 offset1:63
	v_add_nc_u32_e32 v59, 0x800, v75
	s_waitcnt lgkmcnt(0)
	v_lshrrev_b32_e32 v53, 16, v55
	s_waitcnt vmcnt(19)
	v_mul_f16_sdwa v54, v53, v61 dst_sel:DWORD dst_unused:UNUSED_PAD src0_sel:DWORD src1_sel:WORD_1
	v_mul_f16_sdwa v57, v55, v61 dst_sel:DWORD dst_unused:UNUSED_PAD src0_sel:DWORD src1_sel:WORD_1
	v_fma_f16 v54, v55, v61, -v54
	v_fmac_f16_e32 v57, v53, v61
	v_add_nc_u32_e32 v55, 0xc00, v75
	s_waitcnt vmcnt(18)
	v_mul_f16_sdwa v69, v56, v67 dst_sel:DWORD dst_unused:UNUSED_PAD src0_sel:DWORD src1_sel:WORD_1
	v_pack_b32_f16 v53, v54, v57
	v_lshrrev_b32_e32 v57, 16, v56
	v_add_nc_u32_e32 v54, 0xe00, v75
	ds_write_b32 v75, v53
	v_mul_f16_sdwa v60, v57, v67 dst_sel:DWORD dst_unused:UNUSED_PAD src0_sel:DWORD src1_sel:WORD_1
	v_add_nc_u32_e32 v53, 0x200, v75
	v_fmac_f16_e32 v69, v57, v67
	ds_read2_b32 v[61:62], v59 offset0:118 offset1:181
	ds_read2_b32 v[63:64], v75 offset0:126 offset1:189
	v_fma_f16 v70, v56, v67, -v60
	ds_read2_b32 v[65:66], v179 offset0:116 offset1:179
	ds_read2_b32 v[56:57], v53 offset0:124 offset1:187
	v_add_nc_u32_e32 v60, 0x1000, v75
	ds_read2_b32 v[67:68], v55 offset0:114 offset1:177
	v_pack_b32_f16 v182, v70, v69
	ds_read2_b32 v[69:70], v180 offset0:122 offset1:185
	ds_read2_b32 v[156:157], v54 offset0:112 offset1:175
	;; [unrolled: 1-line block ×4, first 2 shown]
	s_waitcnt lgkmcnt(8)
	v_lshrrev_b32_e32 v183, 16, v61
	s_waitcnt vmcnt(17)
	v_mul_f16_sdwa v184, v61, v73 dst_sel:DWORD dst_unused:UNUSED_PAD src0_sel:DWORD src1_sel:WORD_1
	v_lshrrev_b32_e32 v185, 16, v62
	s_waitcnt vmcnt(16)
	v_mul_f16_sdwa v186, v62, v153 dst_sel:DWORD dst_unused:UNUSED_PAD src0_sel:DWORD src1_sel:WORD_1
	s_waitcnt lgkmcnt(7)
	v_lshrrev_b32_e32 v187, 16, v63
	s_waitcnt vmcnt(15)
	v_mul_f16_sdwa v188, v63, v158 dst_sel:DWORD dst_unused:UNUSED_PAD src0_sel:DWORD src1_sel:WORD_1
	s_waitcnt lgkmcnt(6)
	v_lshrrev_b32_e32 v189, 16, v65
	s_waitcnt vmcnt(14)
	v_mul_f16_sdwa v190, v65, v164 dst_sel:DWORD dst_unused:UNUSED_PAD src0_sel:DWORD src1_sel:WORD_1
	v_lshrrev_b32_e32 v191, 16, v64
	s_waitcnt vmcnt(13)
	v_mul_f16_sdwa v192, v64, v165 dst_sel:DWORD dst_unused:UNUSED_PAD src0_sel:DWORD src1_sel:WORD_1
	v_lshrrev_b32_e32 v193, 16, v66
	s_waitcnt vmcnt(12)
	v_mul_f16_sdwa v194, v66, v166 dst_sel:DWORD dst_unused:UNUSED_PAD src0_sel:DWORD src1_sel:WORD_1
	s_waitcnt lgkmcnt(5)
	v_lshrrev_b32_e32 v195, 16, v56
	s_waitcnt vmcnt(11)
	v_mul_f16_sdwa v196, v56, v167 dst_sel:DWORD dst_unused:UNUSED_PAD src0_sel:DWORD src1_sel:WORD_1
	s_waitcnt lgkmcnt(4)
	v_lshrrev_b32_e32 v197, 16, v67
	s_waitcnt vmcnt(10)
	v_mul_f16_sdwa v198, v67, v168 dst_sel:DWORD dst_unused:UNUSED_PAD src0_sel:DWORD src1_sel:WORD_1
	;; [unrolled: 14-line block ×4, first 2 shown]
	v_lshrrev_b32_e32 v215, 16, v161
	s_waitcnt vmcnt(1)
	v_mul_f16_sdwa v216, v161, v177 dst_sel:DWORD dst_unused:UNUSED_PAD src0_sel:DWORD src1_sel:WORD_1
	v_lshrrev_b32_e32 v217, 16, v163
	v_mul_f16_sdwa v219, v183, v73 dst_sel:DWORD dst_unused:UNUSED_PAD src0_sel:DWORD src1_sel:WORD_1
	v_fmac_f16_e32 v184, v183, v73
	v_mul_f16_sdwa v183, v185, v153 dst_sel:DWORD dst_unused:UNUSED_PAD src0_sel:DWORD src1_sel:WORD_1
	v_fmac_f16_e32 v186, v185, v153
	;; [unrolled: 2-line block ×7, first 2 shown]
	v_mul_f16_sdwa v195, v197, v168 dst_sel:DWORD dst_unused:UNUSED_PAD src0_sel:DWORD src1_sel:WORD_1
	s_waitcnt vmcnt(0)
	v_mul_f16_sdwa v218, v163, v178 dst_sel:DWORD dst_unused:UNUSED_PAD src0_sel:DWORD src1_sel:WORD_1
	v_fmac_f16_e32 v198, v197, v168
	v_mul_f16_sdwa v197, v199, v169 dst_sel:DWORD dst_unused:UNUSED_PAD src0_sel:DWORD src1_sel:WORD_1
	v_fmac_f16_e32 v200, v199, v169
	;; [unrolled: 2-line block ×10, first 2 shown]
	v_mul_f16_sdwa v215, v217, v178 dst_sel:DWORD dst_unused:UNUSED_PAD src0_sel:DWORD src1_sel:WORD_1
	v_fma_f16 v63, v63, v158, -v185
	v_fma_f16 v62, v62, v153, -v183
	v_fma_f16 v65, v65, v164, -v187
	v_fma_f16 v64, v64, v165, -v189
	v_fma_f16 v56, v56, v167, -v193
	v_fma_f16 v66, v66, v166, -v191
	v_fma_f16 v67, v67, v168, -v195
	v_fmac_f16_e32 v218, v217, v178
	v_fma_f16 v61, v61, v73, -v219
	v_fma_f16 v57, v57, v169, -v197
	;; [unrolled: 1-line block ×11, first 2 shown]
	v_pack_b32_f16 v63, v63, v188
	v_pack_b32_f16 v62, v62, v186
	;; [unrolled: 1-line block ×18, first 2 shown]
	ds_write2_b32 v75, v182, v63 offset0:63 offset1:126
	ds_write2_b32 v59, v62, v65 offset0:181 offset1:244
	;; [unrolled: 1-line block ×9, first 2 shown]
	ds_write_b32 v75, v160 offset:4788
	s_waitcnt lgkmcnt(0)
	s_barrier
	buffer_gl0_inv
	ds_read2_b32 v[56:57], v75 offset1:63
	ds_read2_b32 v[61:62], v59 offset0:118 offset1:181
	ds_read2_b32 v[63:64], v75 offset0:126 offset1:189
	;; [unrolled: 1-line block ×9, first 2 shown]
	s_waitcnt lgkmcnt(0)
	s_barrier
	buffer_gl0_inv
	v_pk_add_f16 v166, v56, v61 neg_lo:[0,1] neg_hi:[0,1]
	v_pk_add_f16 v62, v57, v62 neg_lo:[0,1] neg_hi:[0,1]
	;; [unrolled: 1-line block ×10, first 2 shown]
	v_pk_fma_f16 v165, v56, 2.0, v166 op_sel_hi:[1,0,1] neg_lo:[0,0,1] neg_hi:[0,0,1]
	v_pk_fma_f16 v61, v57, 2.0, v62 op_sel_hi:[1,0,1] neg_lo:[0,0,1] neg_hi:[0,0,1]
	;; [unrolled: 1-line block ×10, first 2 shown]
	ds_write_b64 v96, v[165:166]
	ds_write_b64 v109, v[61:62]
	;; [unrolled: 1-line block ×10, first 2 shown]
	s_waitcnt lgkmcnt(0)
	s_barrier
	buffer_gl0_inv
	ds_read2_b32 v[56:57], v75 offset1:63
	ds_read2_b32 v[61:62], v59 offset0:118 offset1:181
	ds_read2_b32 v[63:64], v75 offset0:126 offset1:189
	;; [unrolled: 1-line block ×9, first 2 shown]
	s_waitcnt lgkmcnt(0)
	s_barrier
	buffer_gl0_inv
	v_lshrrev_b32_e32 v58, 16, v56
	v_lshrrev_b32_e32 v73, 16, v61
	;; [unrolled: 1-line block ×3, first 2 shown]
	v_mul_f16_sdwa v173, v98, v61 dst_sel:DWORD dst_unused:UNUSED_PAD src0_sel:WORD_1 src1_sel:DWORD
	v_lshrrev_b32_e32 v153, 16, v65
	v_mul_f16_sdwa v174, v99, v62 dst_sel:DWORD dst_unused:UNUSED_PAD src0_sel:WORD_1 src1_sel:DWORD
	v_lshrrev_b32_e32 v160, 16, v66
	v_lshrrev_b32_e32 v162, 16, v69
	;; [unrolled: 1-line block ×4, first 2 shown]
	v_mul_f16_sdwa v175, v98, v65 dst_sel:DWORD dst_unused:UNUSED_PAD src0_sel:WORD_1 src1_sel:DWORD
	v_mul_f16_e32 v176, v112, v66
	v_lshrrev_b32_e32 v168, 16, v109
	v_lshrrev_b32_e32 v170, 16, v157
	;; [unrolled: 1-line block ×3, first 2 shown]
	v_mul_f16_sdwa v177, v98, v69 dst_sel:DWORD dst_unused:UNUSED_PAD src0_sel:WORD_1 src1_sel:DWORD
	v_mul_f16_e32 v178, v110, v70
	v_mul_f16_sdwa v184, v98, v73 dst_sel:DWORD dst_unused:UNUSED_PAD src0_sel:WORD_1 src1_sel:DWORD
	v_fma_f16 v73, v98, v73, -v173
	v_mul_f16_sdwa v173, v99, v105 dst_sel:DWORD dst_unused:UNUSED_PAD src0_sel:WORD_1 src1_sel:DWORD
	v_fma_f16 v105, v106, v105, -v174
	v_mul_f16_sdwa v174, v98, v153 dst_sel:DWORD dst_unused:UNUSED_PAD src0_sel:WORD_1 src1_sel:DWORD
	v_mul_f16_e32 v112, v112, v160
	v_mul_f16_sdwa v179, v98, v108 dst_sel:DWORD dst_unused:UNUSED_PAD src0_sel:WORD_1 src1_sel:DWORD
	v_fma_f16 v153, v98, v153, -v175
	v_fma_f16 v160, v101, v160, -v176
	v_mul_f16_sdwa v175, v98, v162 dst_sel:DWORD dst_unused:UNUSED_PAD src0_sel:WORD_1 src1_sel:DWORD
	v_mul_f16_e32 v110, v110, v164
	v_mul_f16_sdwa v176, v98, v166 dst_sel:DWORD dst_unused:UNUSED_PAD src0_sel:WORD_1 src1_sel:DWORD
	v_lshrrev_b32_e32 v96, 16, v57
	v_lshrrev_b32_e32 v159, 16, v64
	;; [unrolled: 1-line block ×3, first 2 shown]
	v_mul_f16_e32 v181, v111, v109
	v_mul_f16_sdwa v182, v98, v157 dst_sel:DWORD dst_unused:UNUSED_PAD src0_sel:WORD_1 src1_sel:DWORD
	v_mul_f16_e32 v183, v107, v158
	v_fma_f16 v162, v98, v162, -v177
	v_fma_f16 v164, v102, v164, -v178
	v_mul_f16_e32 v111, v111, v168
	v_mul_f16_sdwa v177, v98, v170 dst_sel:DWORD dst_unused:UNUSED_PAD src0_sel:WORD_1 src1_sel:DWORD
	v_mul_f16_e32 v107, v107, v172
	v_fmac_f16_e32 v184, v98, v61
	v_fmac_f16_e32 v173, v106, v62
	v_lshrrev_b32_e32 v114, 16, v63
	v_fmac_f16_e32 v174, v98, v65
	v_fmac_f16_e32 v112, v101, v66
	v_lshrrev_b32_e32 v161, 16, v67
	v_lshrrev_b32_e32 v165, 16, v103
	v_fma_f16 v166, v98, v166, -v179
	v_fmac_f16_e32 v175, v98, v69
	v_fmac_f16_e32 v110, v102, v70
	;; [unrolled: 1-line block ×3, first 2 shown]
	v_lshrrev_b32_e32 v167, 16, v104
	v_lshrrev_b32_e32 v169, 16, v155
	;; [unrolled: 1-line block ×3, first 2 shown]
	v_fma_f16 v168, v100, v168, -v181
	v_fma_f16 v170, v98, v170, -v182
	;; [unrolled: 1-line block ×3, first 2 shown]
	v_fmac_f16_e32 v111, v100, v109
	v_fmac_f16_e32 v177, v98, v157
	;; [unrolled: 1-line block ×3, first 2 shown]
	v_sub_f16_e32 v61, v58, v73
	v_sub_f16_e32 v62, v96, v105
	;; [unrolled: 1-line block ×17, first 2 shown]
	v_fma_f16 v58, v58, 2.0, -v61
	v_fma_f16 v153, v159, 2.0, -v66
	v_fma_f16 v159, v163, 2.0, -v70
	v_sub_f16_e32 v111, v104, v111
	v_sub_f16_e32 v163, v155, v177
	;; [unrolled: 1-line block ×3, first 2 shown]
	v_fma_f16 v56, v56, 2.0, -v105
	v_fma_f16 v108, v96, 2.0, -v62
	;; [unrolled: 1-line block ×17, first 2 shown]
	v_pack_b32_f16 v61, v105, v61
	v_pack_b32_f16 v56, v56, v58
	;; [unrolled: 1-line block ×20, first 2 shown]
	ds_write2_b32 v113, v56, v61 offset1:2
	ds_write2_b32 v115, v57, v62 offset1:2
	;; [unrolled: 1-line block ×10, first 2 shown]
	s_waitcnt lgkmcnt(0)
	s_barrier
	buffer_gl0_inv
	ds_read2_b32 v[57:58], v75 offset1:63
	ds_read2_b32 v[69:70], v180 offset0:164 offset1:227
	ds_read2_b32 v[67:68], v55 offset0:72 offset1:135
	;; [unrolled: 1-line block ×8, first 2 shown]
	s_and_saveexec_b32 s1, vcc_lo
	s_cbranch_execz .LBB0_15
; %bb.14:
	ds_read_b32 v73, v75 offset:1512
	ds_read_b32 v99, v75 offset:3192
	;; [unrolled: 1-line block ×3, first 2 shown]
	s_waitcnt lgkmcnt(2)
	v_lshrrev_b32_e32 v96, 16, v73
	s_waitcnt lgkmcnt(1)
	v_lshrrev_b32_e32 v98, 16, v99
	;; [unrolled: 2-line block ×3, first 2 shown]
.LBB0_15:
	s_or_b32 exec_lo, exec_lo, s1
	s_waitcnt lgkmcnt(7)
	v_lshrrev_b32_e32 v101, 16, v69
	s_waitcnt lgkmcnt(6)
	v_lshrrev_b32_e32 v102, 16, v67
	v_lshrrev_b32_e32 v104, 16, v70
	v_mul_f16_sdwa v118, v29, v69 dst_sel:DWORD dst_unused:UNUSED_PAD src0_sel:WORD_1 src1_sel:DWORD
	v_lshrrev_b32_e32 v105, 16, v68
	v_mul_f16_sdwa v116, v29, v101 dst_sel:DWORD dst_unused:UNUSED_PAD src0_sel:WORD_1 src1_sel:DWORD
	v_mul_f16_sdwa v120, v30, v102 dst_sel:DWORD dst_unused:UNUSED_PAD src0_sel:WORD_1 src1_sel:DWORD
	s_waitcnt lgkmcnt(4)
	v_lshrrev_b32_e32 v107, 16, v65
	v_fma_f16 v101, v29, v101, -v118
	v_mul_f16_sdwa v118, v128, v104 dst_sel:DWORD dst_unused:UNUSED_PAD src0_sel:WORD_1 src1_sel:DWORD
	v_fmac_f16_e32 v116, v29, v69
	v_mul_f16_sdwa v69, v30, v67 dst_sel:DWORD dst_unused:UNUSED_PAD src0_sel:WORD_1 src1_sel:DWORD
	s_waitcnt lgkmcnt(3)
	v_lshrrev_b32_e32 v108, 16, v63
	v_fmac_f16_e32 v120, v30, v67
	v_mul_f16_sdwa v67, v128, v70 dst_sel:DWORD dst_unused:UNUSED_PAD src0_sel:WORD_1 src1_sel:DWORD
	v_fmac_f16_e32 v118, v140, v70
	v_fma_f16 v69, v30, v102, -v69
	v_mul_f16_sdwa v102, v126, v105 dst_sel:DWORD dst_unused:UNUSED_PAD src0_sel:WORD_1 src1_sel:DWORD
	v_mul_f16_sdwa v70, v126, v68 dst_sel:DWORD dst_unused:UNUSED_PAD src0_sel:WORD_1 src1_sel:DWORD
	v_lshrrev_b32_e32 v110, 16, v66
	v_fma_f16 v67, v140, v104, -v67
	v_mul_f16_sdwa v104, v125, v107 dst_sel:DWORD dst_unused:UNUSED_PAD src0_sel:WORD_1 src1_sel:DWORD
	v_fmac_f16_e32 v102, v149, v68
	v_mul_f16_sdwa v68, v125, v65 dst_sel:DWORD dst_unused:UNUSED_PAD src0_sel:WORD_1 src1_sel:DWORD
	v_fma_f16 v70, v149, v105, -v70
	v_mul_f16_sdwa v105, v124, v108 dst_sel:DWORD dst_unused:UNUSED_PAD src0_sel:WORD_1 src1_sel:DWORD
	v_lshrrev_b32_e32 v111, 16, v64
	s_waitcnt lgkmcnt(1)
	v_lshrrev_b32_e32 v113, 16, v61
	v_fmac_f16_e32 v104, v139, v65
	v_mul_f16_sdwa v65, v124, v63 dst_sel:DWORD dst_unused:UNUSED_PAD src0_sel:WORD_1 src1_sel:DWORD
	v_fma_f16 v68, v139, v107, -v68
	v_mul_f16_sdwa v107, v31, v110 dst_sel:DWORD dst_unused:UNUSED_PAD src0_sel:WORD_1 src1_sel:DWORD
	v_fmac_f16_e32 v105, v148, v63
	v_mul_f16_sdwa v63, v31, v66 dst_sel:DWORD dst_unused:UNUSED_PAD src0_sel:WORD_1 src1_sel:DWORD
	s_waitcnt lgkmcnt(0)
	v_lshrrev_b32_e32 v114, 16, v59
	v_fma_f16 v65, v148, v108, -v65
	v_mul_f16_sdwa v108, v32, v111 dst_sel:DWORD dst_unused:UNUSED_PAD src0_sel:WORD_1 src1_sel:DWORD
	v_fmac_f16_e32 v107, v31, v66
	v_mul_f16_sdwa v66, v32, v64 dst_sel:DWORD dst_unused:UNUSED_PAD src0_sel:WORD_1 src1_sel:DWORD
	v_fma_f16 v31, v31, v110, -v63
	v_mul_f16_sdwa v63, v29, v113 dst_sel:DWORD dst_unused:UNUSED_PAD src0_sel:WORD_1 src1_sel:DWORD
	v_lshrrev_b32_e32 v117, 16, v62
	v_lshrrev_b32_e32 v119, 16, v60
	v_fmac_f16_e32 v108, v32, v64
	v_mul_f16_sdwa v64, v29, v61 dst_sel:DWORD dst_unused:UNUSED_PAD src0_sel:WORD_1 src1_sel:DWORD
	v_fma_f16 v32, v32, v111, -v66
	v_mul_f16_sdwa v66, v30, v114 dst_sel:DWORD dst_unused:UNUSED_PAD src0_sel:WORD_1 src1_sel:DWORD
	v_fmac_f16_e32 v63, v29, v61
	v_mul_f16_sdwa v61, v30, v59 dst_sel:DWORD dst_unused:UNUSED_PAD src0_sel:WORD_1 src1_sel:DWORD
	v_fma_f16 v29, v29, v113, -v64
	v_mul_f16_e32 v64, v130, v117
	v_fmac_f16_e32 v66, v30, v59
	v_mul_f16_e32 v59, v130, v62
	v_fma_f16 v30, v30, v114, -v61
	v_mul_f16_e32 v61, v135, v119
	v_fmac_f16_e32 v64, v128, v62
	v_mul_f16_e32 v62, v135, v60
	v_mul_f16_e32 v110, v129, v98
	v_lshrrev_b32_e32 v100, 16, v57
	v_fmac_f16_e32 v61, v126, v60
	v_mul_f16_e32 v60, v129, v99
	v_mul_f16_e32 v111, v134, v72
	v_fmac_f16_e32 v110, v125, v99
	v_mul_f16_e32 v99, v134, v71
	v_lshrrev_b32_e32 v103, 16, v58
	v_fma_f16 v60, v125, v98, -v60
	v_add_f16_e32 v98, v116, v120
	v_fmac_f16_e32 v111, v124, v71
	v_add_f16_e32 v71, v57, v116
	v_fma_f16 v72, v124, v72, -v99
	v_add_f16_e32 v99, v101, v69
	v_fma_f16 v57, -0.5, v98, v57
	v_sub_f16_e32 v98, v101, v69
	v_add_f16_e32 v101, v100, v101
	v_add_f16_e32 v114, v58, v118
	v_fmac_f16_e32 v100, -0.5, v99
	v_sub_f16_e32 v99, v116, v120
	v_fmamk_f16 v113, v98, 0xbaee, v57
	v_fmac_f16_e32 v57, 0x3aee, v98
	v_add_f16_e32 v98, v101, v69
	v_add_f16_e32 v69, v118, v102
	v_fmamk_f16 v101, v99, 0x3aee, v100
	v_fmac_f16_e32 v100, 0xbaee, v99
	v_add_f16_e32 v99, v67, v70
	v_lshrrev_b32_e32 v106, 16, v55
	v_fmac_f16_e32 v58, -0.5, v69
	v_sub_f16_e32 v69, v67, v70
	v_add_f16_e32 v67, v103, v67
	v_add_f16_e32 v114, v114, v102
	v_fmac_f16_e32 v103, -0.5, v99
	v_sub_f16_e32 v99, v118, v102
	v_fmamk_f16 v102, v69, 0xbaee, v58
	v_add_f16_e32 v116, v67, v70
	v_add_f16_e32 v67, v104, v105
	v_fmac_f16_e32 v58, 0x3aee, v69
	v_add_f16_e32 v69, v55, v104
	v_add_f16_e32 v70, v68, v65
	v_lshrrev_b32_e32 v109, 16, v56
	v_fma_f16 v55, -0.5, v67, v55
	v_sub_f16_e32 v67, v68, v65
	v_fma_f16 v59, v128, v117, -v59
	v_fmamk_f16 v117, v99, 0x3aee, v103
	v_fmac_f16_e32 v103, 0xbaee, v99
	v_add_f16_e32 v99, v69, v105
	v_add_f16_e32 v68, v106, v68
	v_fmac_f16_e32 v106, -0.5, v70
	v_sub_f16_e32 v69, v104, v105
	v_fmamk_f16 v104, v67, 0xbaee, v55
	v_fmac_f16_e32 v55, 0x3aee, v67
	v_add_f16_e32 v67, v107, v108
	v_add_f16_e32 v65, v68, v65
	v_fmamk_f16 v105, v69, 0x3aee, v106
	v_add_f16_e32 v68, v56, v107
	v_fmac_f16_e32 v106, 0xbaee, v69
	v_add_f16_e32 v69, v31, v32
	v_fmac_f16_e32 v56, -0.5, v67
	v_sub_f16_e32 v67, v31, v32
	v_add_f16_e32 v31, v109, v31
	v_lshrrev_b32_e32 v112, 16, v53
	v_add_f16_e32 v118, v68, v108
	v_fmac_f16_e32 v109, -0.5, v69
	v_sub_f16_e32 v68, v107, v108
	v_add_f16_e32 v31, v31, v32
	v_add_f16_e32 v32, v63, v66
	v_fmamk_f16 v107, v67, 0xbaee, v56
	v_fmac_f16_e32 v56, 0x3aee, v67
	v_fmamk_f16 v108, v68, 0x3aee, v109
	v_add_f16_e32 v67, v53, v63
	v_fmac_f16_e32 v109, 0xbaee, v68
	v_add_f16_e32 v68, v29, v30
	v_fma_f16 v32, -0.5, v32, v53
	v_sub_f16_e32 v53, v29, v30
	v_add_f16_e32 v29, v112, v29
	v_lshrrev_b32_e32 v115, 16, v54
	v_fma_f16 v62, v126, v119, -v62
	v_fmac_f16_e32 v112, -0.5, v68
	v_sub_f16_e32 v63, v63, v66
	v_add_f16_e32 v29, v29, v30
	v_add_f16_e32 v30, v64, v61
	;; [unrolled: 1-line block ×3, first 2 shown]
	v_fmamk_f16 v66, v53, 0xbaee, v32
	v_fmac_f16_e32 v32, 0x3aee, v53
	v_fmamk_f16 v53, v63, 0x3aee, v112
	v_add_f16_e32 v67, v54, v64
	v_fmac_f16_e32 v112, 0xbaee, v63
	v_add_f16_e32 v63, v59, v62
	v_fmac_f16_e32 v54, -0.5, v30
	v_sub_f16_e32 v30, v59, v62
	v_add_f16_e32 v59, v115, v59
	v_add_f16_e32 v71, v71, v120
	;; [unrolled: 1-line block ×3, first 2 shown]
	v_fmac_f16_e32 v115, -0.5, v63
	v_sub_f16_e32 v61, v64, v61
	v_fmamk_f16 v63, v30, 0xbaee, v54
	v_fmac_f16_e32 v54, 0x3aee, v30
	v_add_f16_e32 v30, v59, v62
	v_add_f16_e32 v59, v111, v110
	v_fmamk_f16 v62, v61, 0x3aee, v115
	v_fmac_f16_e32 v115, 0xbaee, v61
	v_add_f16_e32 v61, v72, v60
	v_add_f16_e32 v64, v73, v110
	v_fmac_f16_e32 v73, -0.5, v59
	v_sub_f16_e32 v59, v60, v72
	v_add_f16_e32 v60, v60, v96
	v_pack_b32_f16 v57, v57, v100
	v_fmac_f16_e32 v96, -0.5, v61
	v_sub_f16_e32 v61, v110, v111
	v_fmamk_f16 v70, v59, 0xbaee, v73
	v_fmac_f16_e32 v73, 0x3aee, v59
	v_add_f16_e32 v68, v72, v60
	v_pack_b32_f16 v59, v71, v98
	v_pack_b32_f16 v60, v113, v101
	s_barrier
	buffer_gl0_inv
	ds_write2_b32 v138, v59, v60 offset1:4
	ds_write_b32 v138, v57 offset:32
	v_pack_b32_f16 v57, v114, v116
	v_pack_b32_f16 v59, v102, v117
	;; [unrolled: 1-line block ×3, first 2 shown]
	v_fmamk_f16 v69, v61, 0x3aee, v96
	v_fmac_f16_e32 v96, 0xbaee, v61
	v_pack_b32_f16 v60, v99, v65
	v_pack_b32_f16 v61, v104, v105
	;; [unrolled: 1-line block ×3, first 2 shown]
	v_add_f16_e32 v67, v111, v64
	v_pack_b32_f16 v31, v118, v31
	v_pack_b32_f16 v64, v107, v108
	ds_write2_b32 v137, v57, v59 offset1:4
	ds_write_b32 v137, v58 offset:32
	ds_write2_b32 v136, v60, v61 offset1:4
	ds_write_b32 v136, v55 offset:32
	ds_write2_b32 v133, v31, v64 offset1:4
	v_pack_b32_f16 v31, v56, v109
	v_pack_b32_f16 v29, v119, v29
	v_pack_b32_f16 v53, v66, v53
	v_pack_b32_f16 v32, v32, v112
	v_pack_b32_f16 v30, v120, v30
	v_pack_b32_f16 v55, v63, v62
	v_pack_b32_f16 v54, v54, v115
	ds_write_b32 v133, v31 offset:32
	ds_write2_b32 v132, v29, v53 offset1:4
	ds_write_b32 v132, v32 offset:32
	ds_write2_b32 v131, v30, v55 offset1:4
	ds_write_b32 v131, v54 offset:32
	s_and_saveexec_b32 s1, vcc_lo
	s_cbranch_execz .LBB0_17
; %bb.16:
	v_mul_u32_u24_e32 v29, 12, v127
	v_perm_b32 v30, v68, v67, 0x5040100
	v_perm_b32 v31, v69, v70, 0x5040100
	;; [unrolled: 1-line block ×3, first 2 shown]
	v_or_b32_e32 v29, v29, v97
	v_lshlrev_b32_e32 v29, 2, v29
	ds_write2_b32 v29, v30, v31 offset1:4
	ds_write_b32 v29, v32 offset:32
.LBB0_17:
	s_or_b32 exec_lo, exec_lo, s1
	v_add_nc_u32_e32 v29, 0x400, v75
	v_add_nc_u32_e32 v30, 0xc00, v75
	;; [unrolled: 1-line block ×3, first 2 shown]
	s_waitcnt lgkmcnt(0)
	s_barrier
	buffer_gl0_inv
	ds_read2_b32 v[31:32], v75 offset1:63
	ds_read2_b32 v[65:66], v29 offset0:164 offset1:227
	ds_read2_b32 v[63:64], v30 offset0:72 offset1:135
	v_add_nc_u32_e32 v29, 0xe00, v75
	v_add_nc_u32_e32 v30, 0x200, v75
	;; [unrolled: 1-line block ×3, first 2 shown]
	ds_read2_b32 v[53:54], v75 offset0:126 offset1:189
	ds_read2_b32 v[61:62], v55 offset0:34 offset1:97
	;; [unrolled: 1-line block ×6, first 2 shown]
	s_and_saveexec_b32 s1, vcc_lo
	s_cbranch_execz .LBB0_19
; %bb.18:
	ds_read_b32 v67, v75 offset:1512
	ds_read_b32 v70, v75 offset:3192
	;; [unrolled: 1-line block ×3, first 2 shown]
	s_waitcnt lgkmcnt(2)
	v_lshrrev_b32_e32 v68, 16, v67
	s_waitcnt lgkmcnt(1)
	v_lshrrev_b32_e32 v69, 16, v70
	s_waitcnt lgkmcnt(0)
	v_lshrrev_b32_e32 v96, 16, v73
.LBB0_19:
	s_or_b32 exec_lo, exec_lo, s1
	s_waitcnt lgkmcnt(7)
	v_lshrrev_b32_e32 v72, 16, v65
	s_waitcnt lgkmcnt(6)
	v_lshrrev_b32_e32 v97, 16, v63
	v_lshrrev_b32_e32 v99, 16, v66
	;; [unrolled: 1-line block ×3, first 2 shown]
	v_mul_f16_sdwa v114, v45, v65 dst_sel:DWORD dst_unused:UNUSED_PAD src0_sel:WORD_1 src1_sel:DWORD
	v_mul_f16_sdwa v110, v45, v72 dst_sel:DWORD dst_unused:UNUSED_PAD src0_sel:WORD_1 src1_sel:DWORD
	s_waitcnt lgkmcnt(4)
	v_lshrrev_b32_e32 v102, 16, v61
	s_waitcnt lgkmcnt(3)
	v_lshrrev_b32_e32 v103, 16, v59
	v_mul_f16_sdwa v115, v46, v63 dst_sel:DWORD dst_unused:UNUSED_PAD src0_sel:WORD_1 src1_sel:DWORD
	v_mul_f16_sdwa v116, v43, v99 dst_sel:DWORD dst_unused:UNUSED_PAD src0_sel:WORD_1 src1_sel:DWORD
	v_fmac_f16_e32 v110, v45, v65
	v_mul_f16_sdwa v65, v46, v97 dst_sel:DWORD dst_unused:UNUSED_PAD src0_sel:WORD_1 src1_sel:DWORD
	v_fma_f16 v45, v45, v72, -v114
	v_mul_f16_sdwa v72, v43, v66 dst_sel:DWORD dst_unused:UNUSED_PAD src0_sel:WORD_1 src1_sel:DWORD
	v_lshrrev_b32_e32 v105, 16, v62
	v_lshrrev_b32_e32 v106, 16, v60
	v_fmac_f16_e32 v65, v46, v63
	v_mul_f16_sdwa v63, v44, v100 dst_sel:DWORD dst_unused:UNUSED_PAD src0_sel:WORD_1 src1_sel:DWORD
	v_fma_f16 v46, v46, v97, -v115
	v_fmac_f16_e32 v116, v43, v66
	v_fma_f16 v43, v43, v99, -v72
	v_mul_f16_sdwa v66, v44, v64 dst_sel:DWORD dst_unused:UNUSED_PAD src0_sel:WORD_1 src1_sel:DWORD
	v_mul_f16_sdwa v72, v41, v102 dst_sel:DWORD dst_unused:UNUSED_PAD src0_sel:WORD_1 src1_sel:DWORD
	;; [unrolled: 1-line block ×3, first 2 shown]
	v_fmac_f16_e32 v63, v44, v64
	v_mul_f16_sdwa v64, v42, v103 dst_sel:DWORD dst_unused:UNUSED_PAD src0_sel:WORD_1 src1_sel:DWORD
	s_waitcnt lgkmcnt(1)
	v_lshrrev_b32_e32 v108, 16, v57
	s_waitcnt lgkmcnt(0)
	v_lshrrev_b32_e32 v109, 16, v55
	v_fma_f16 v44, v44, v100, -v66
	v_fmac_f16_e32 v72, v41, v61
	v_fma_f16 v41, v41, v102, -v97
	v_mul_f16_sdwa v61, v42, v59 dst_sel:DWORD dst_unused:UNUSED_PAD src0_sel:WORD_1 src1_sel:DWORD
	v_fmac_f16_e32 v64, v42, v59
	v_mul_f16_sdwa v59, v39, v105 dst_sel:DWORD dst_unused:UNUSED_PAD src0_sel:WORD_1 src1_sel:DWORD
	v_mul_f16_sdwa v66, v39, v62 dst_sel:DWORD dst_unused:UNUSED_PAD src0_sel:WORD_1 src1_sel:DWORD
	;; [unrolled: 1-line block ×3, first 2 shown]
	v_lshrrev_b32_e32 v112, 16, v58
	v_fma_f16 v42, v42, v103, -v61
	v_mul_f16_sdwa v61, v40, v60 dst_sel:DWORD dst_unused:UNUSED_PAD src0_sel:WORD_1 src1_sel:DWORD
	v_fmac_f16_e32 v59, v39, v62
	v_fma_f16 v39, v39, v105, -v66
	v_fmac_f16_e32 v97, v40, v60
	v_mul_f16_sdwa v60, v37, v108 dst_sel:DWORD dst_unused:UNUSED_PAD src0_sel:WORD_1 src1_sel:DWORD
	v_mul_f16_sdwa v62, v38, v109 dst_sel:DWORD dst_unused:UNUSED_PAD src0_sel:WORD_1 src1_sel:DWORD
	;; [unrolled: 1-line block ×3, first 2 shown]
	v_lshrrev_b32_e32 v113, 16, v56
	v_fma_f16 v40, v40, v106, -v61
	v_mul_f16_sdwa v61, v37, v57 dst_sel:DWORD dst_unused:UNUSED_PAD src0_sel:WORD_1 src1_sel:DWORD
	v_fmac_f16_e32 v60, v37, v57
	v_mul_f16_sdwa v57, v35, v112 dst_sel:DWORD dst_unused:UNUSED_PAD src0_sel:WORD_1 src1_sel:DWORD
	v_fmac_f16_e32 v62, v38, v55
	v_fma_f16 v55, v38, v109, -v66
	v_mul_f16_sdwa v38, v35, v58 dst_sel:DWORD dst_unused:UNUSED_PAD src0_sel:WORD_1 src1_sel:DWORD
	v_fma_f16 v61, v37, v108, -v61
	v_fmac_f16_e32 v57, v35, v58
	v_mul_f16_sdwa v58, v36, v113 dst_sel:DWORD dst_unused:UNUSED_PAD src0_sel:WORD_1 src1_sel:DWORD
	v_mul_f16_sdwa v66, v36, v56 dst_sel:DWORD dst_unused:UNUSED_PAD src0_sel:WORD_1 src1_sel:DWORD
	;; [unrolled: 1-line block ×3, first 2 shown]
	v_fma_f16 v35, v35, v112, -v38
	v_mul_f16_sdwa v38, v33, v70 dst_sel:DWORD dst_unused:UNUSED_PAD src0_sel:WORD_1 src1_sel:DWORD
	v_fmac_f16_e32 v58, v36, v56
	v_fma_f16 v36, v36, v113, -v66
	v_fmac_f16_e32 v37, v33, v70
	v_add_f16_e32 v56, v110, v65
	v_fma_f16 v38, v33, v69, -v38
	v_mul_f16_sdwa v33, v34, v96 dst_sel:DWORD dst_unused:UNUSED_PAD src0_sel:WORD_1 src1_sel:DWORD
	v_mul_f16_sdwa v66, v34, v73 dst_sel:DWORD dst_unused:UNUSED_PAD src0_sel:WORD_1 src1_sel:DWORD
	v_lshrrev_b32_e32 v71, 16, v31
	v_add_f16_e32 v69, v31, v110
	v_fma_f16 v56, -0.5, v56, v31
	v_sub_f16_e32 v70, v45, v46
	v_fmac_f16_e32 v33, v34, v73
	v_fma_f16 v31, v34, v96, -v66
	v_add_f16_e32 v34, v45, v46
	v_add_f16_e32 v66, v69, v65
	v_fmamk_f16 v69, v70, 0xbaee, v56
	v_add_f16_e32 v45, v71, v45
	v_fmac_f16_e32 v56, 0x3aee, v70
	v_add_f16_e32 v70, v116, v63
	v_fmac_f16_e32 v71, -0.5, v34
	v_sub_f16_e32 v34, v110, v65
	v_lshrrev_b32_e32 v98, 16, v32
	v_add_f16_e32 v45, v45, v46
	v_add_f16_e32 v46, v32, v116
	v_fmac_f16_e32 v32, -0.5, v70
	v_sub_f16_e32 v65, v43, v44
	v_fmamk_f16 v70, v34, 0x3aee, v71
	v_fmac_f16_e32 v71, 0xbaee, v34
	v_add_f16_e32 v34, v43, v44
	v_add_f16_e32 v43, v98, v43
	v_fmamk_f16 v73, v65, 0xbaee, v32
	v_fmac_f16_e32 v32, 0x3aee, v65
	v_add_f16_e32 v65, v72, v64
	v_fmac_f16_e32 v98, -0.5, v34
	v_sub_f16_e32 v34, v116, v63
	v_lshrrev_b32_e32 v101, 16, v53
	v_add_f16_e32 v43, v43, v44
	v_add_f16_e32 v44, v53, v72
	v_fma_f16 v53, -0.5, v65, v53
	v_fmamk_f16 v65, v34, 0x3aee, v98
	v_fmac_f16_e32 v98, 0xbaee, v34
	v_add_f16_e32 v34, v41, v42
	v_add_f16_e32 v46, v46, v63
	v_sub_f16_e32 v63, v41, v42
	v_add_f16_e32 v41, v101, v41
	v_lshrrev_b32_e32 v104, 16, v54
	v_fmac_f16_e32 v101, -0.5, v34
	v_sub_f16_e32 v34, v72, v64
	v_add_f16_e32 v44, v44, v64
	v_fmamk_f16 v96, v63, 0xbaee, v53
	v_fmac_f16_e32 v53, 0x3aee, v63
	v_add_f16_e32 v63, v59, v97
	v_fmamk_f16 v64, v34, 0x3aee, v101
	v_fmac_f16_e32 v101, 0xbaee, v34
	v_add_f16_e32 v34, v39, v40
	v_add_f16_e32 v41, v41, v42
	;; [unrolled: 1-line block ×3, first 2 shown]
	v_fmac_f16_e32 v54, -0.5, v63
	v_sub_f16_e32 v63, v39, v40
	v_add_f16_e32 v39, v104, v39
	v_fmac_f16_e32 v104, -0.5, v34
	v_sub_f16_e32 v34, v59, v97
	v_lshrrev_b32_e32 v107, 16, v29
	v_add_f16_e32 v42, v42, v97
	v_fmamk_f16 v72, v63, 0xbaee, v54
	v_fmac_f16_e32 v54, 0x3aee, v63
	v_add_f16_e32 v63, v60, v62
	v_add_f16_e32 v59, v39, v40
	;; [unrolled: 1-line block ×3, first 2 shown]
	v_fmamk_f16 v97, v34, 0x3aee, v104
	v_fmac_f16_e32 v104, 0xbaee, v34
	v_add_f16_e32 v34, v61, v55
	v_fma_f16 v63, -0.5, v63, v29
	v_sub_f16_e32 v29, v61, v55
	v_add_f16_e32 v99, v39, v62
	v_add_f16_e32 v39, v107, v61
	v_fmac_f16_e32 v107, -0.5, v34
	v_sub_f16_e32 v34, v60, v62
	v_lshrrev_b32_e32 v111, 16, v30
	v_fmamk_f16 v100, v29, 0xbaee, v63
	v_fmac_f16_e32 v63, 0x3aee, v29
	v_add_f16_e32 v29, v57, v58
	v_fmamk_f16 v60, v34, 0x3aee, v107
	v_fmac_f16_e32 v107, 0xbaee, v34
	v_add_f16_e32 v34, v35, v36
	v_add_f16_e32 v40, v30, v57
	v_fmac_f16_e32 v30, -0.5, v29
	v_sub_f16_e32 v29, v35, v36
	v_add_f16_e32 v35, v111, v35
	v_fmac_f16_e32 v111, -0.5, v34
	v_sub_f16_e32 v57, v57, v58
	v_add_f16_e32 v61, v40, v58
	v_fmamk_f16 v62, v29, 0xbaee, v30
	v_fmac_f16_e32 v30, 0x3aee, v29
	v_add_f16_e32 v29, v33, v37
	v_add_f16_e32 v40, v31, v38
	v_fmamk_f16 v102, v57, 0x3aee, v111
	v_fmac_f16_e32 v111, 0xbaee, v57
	v_pack_b32_f16 v45, v66, v45
	v_pack_b32_f16 v57, v69, v70
	;; [unrolled: 1-line block ×3, first 2 shown]
	v_add_f16_e32 v55, v39, v55
	v_fma_f16 v29, -0.5, v29, v67
	v_sub_f16_e32 v39, v38, v31
	v_fma_f16 v34, -0.5, v40, v68
	v_sub_f16_e32 v40, v37, v33
	s_barrier
	buffer_gl0_inv
	ds_write2_b32 v147, v45, v57 offset1:12
	ds_write_b32 v147, v56 offset:96
	v_pack_b32_f16 v43, v46, v43
	v_pack_b32_f16 v45, v73, v65
	;; [unrolled: 1-line block ×5, first 2 shown]
	v_add_f16_e32 v58, v35, v36
	v_pack_b32_f16 v46, v53, v101
	v_pack_b32_f16 v42, v42, v59
	;; [unrolled: 1-line block ×3, first 2 shown]
	v_fmamk_f16 v35, v39, 0x3aee, v29
	v_fmamk_f16 v36, v40, 0xbaee, v34
	ds_write2_b32 v146, v43, v45 offset1:12
	ds_write_b32 v146, v32 offset:96
	ds_write2_b32 v145, v41, v44 offset1:12
	ds_write_b32 v145, v46 offset:96
	ds_write2_b32 v144, v42, v53 offset1:12
	v_pack_b32_f16 v32, v54, v104
	v_pack_b32_f16 v41, v99, v55
	;; [unrolled: 1-line block ×7, first 2 shown]
	ds_write_b32 v144, v32 offset:96
	ds_write2_b32 v143, v41, v42 offset1:12
	ds_write_b32 v143, v43 offset:96
	ds_write2_b32 v142, v44, v45 offset1:12
	ds_write_b32 v142, v30 offset:96
	s_and_saveexec_b32 s1, vcc_lo
	s_cbranch_execz .LBB0_21
; %bb.20:
	v_mul_f16_e32 v30, 0x3aee, v40
	v_add_f16_e32 v32, v38, v68
	v_add_f16_e32 v37, v67, v37
	v_mul_f16_e32 v38, 0x3aee, v39
	v_add_f16_e32 v30, v30, v34
	v_add_f16_e32 v31, v31, v32
	v_mov_b32_e32 v32, 2
	v_add_f16_e32 v33, v33, v37
	v_sub_f16_e32 v29, v29, v38
	v_lshlrev_b32_sdwa v32, v32, v141 dst_sel:DWORD dst_unused:UNUSED_PAD src0_sel:DWORD src1_sel:WORD_0
	v_pack_b32_f16 v31, v33, v31
	v_pack_b32_f16 v29, v29, v30
	v_perm_b32 v30, v36, v35, 0x5040100
	ds_write2_b32 v32, v31, v29 offset1:12
	ds_write_b32 v32, v30 offset:96
.LBB0_21:
	s_or_b32 exec_lo, exec_lo, s1
	v_add_nc_u32_e32 v29, 0x200, v75
	v_add_nc_u32_e32 v30, 0x600, v75
	v_add_nc_u32_e32 v38, 0xa00, v75
	v_add_nc_u32_e32 v33, 0xe00, v75
	s_waitcnt lgkmcnt(0)
	s_barrier
	buffer_gl0_inv
	ds_read2_b32 v[31:32], v75 offset1:63
	ds_read2_b32 v[44:45], v29 offset0:124 offset1:187
	ds_read2_b32 v[53:54], v30 offset0:120 offset1:183
	;; [unrolled: 1-line block ×4, first 2 shown]
	v_add_nc_u32_e32 v39, 0x400, v75
	v_add_nc_u32_e32 v41, 0x800, v75
	;; [unrolled: 1-line block ×4, first 2 shown]
	ds_read2_b32 v[29:30], v75 offset0:126 offset1:189
	ds_read2_b32 v[59:60], v39 offset0:122 offset1:185
	;; [unrolled: 1-line block ×5, first 2 shown]
	s_waitcnt lgkmcnt(0)
	s_barrier
	buffer_gl0_inv
	v_lshrrev_b32_e32 v43, 16, v31
	v_lshrrev_b32_e32 v46, 16, v44
	;; [unrolled: 1-line block ×5, first 2 shown]
	v_mul_f16_sdwa v103, v12, v44 dst_sel:DWORD dst_unused:UNUSED_PAD src0_sel:WORD_1 src1_sel:DWORD
	v_mul_f16_sdwa v102, v12, v46 dst_sel:DWORD dst_unused:UNUSED_PAD src0_sel:WORD_1 src1_sel:DWORD
	;; [unrolled: 1-line block ×3, first 2 shown]
	v_lshrrev_b32_e32 v70, 16, v45
	v_lshrrev_b32_e32 v71, 16, v54
	;; [unrolled: 1-line block ×3, first 2 shown]
	v_fmac_f16_e32 v102, v12, v44
	v_fma_f16 v12, v12, v46, -v103
	v_fmac_f16_e32 v104, v13, v53
	v_mul_f16_sdwa v44, v13, v53 dst_sel:DWORD dst_unused:UNUSED_PAD src0_sel:WORD_1 src1_sel:DWORD
	v_mul_f16_sdwa v46, v14, v68 dst_sel:DWORD dst_unused:UNUSED_PAD src0_sel:WORD_1 src1_sel:DWORD
	v_mul_f16_sdwa v53, v14, v55 dst_sel:DWORD dst_unused:UNUSED_PAD src0_sel:WORD_1 src1_sel:DWORD
	v_mul_f16_sdwa v103, v15, v69 dst_sel:DWORD dst_unused:UNUSED_PAD src0_sel:WORD_1 src1_sel:DWORD
	v_lshrrev_b32_e32 v73, 16, v58
	v_lshrrev_b32_e32 v96, 16, v59
	v_mul_f16_sdwa v107, v15, v57 dst_sel:DWORD dst_unused:UNUSED_PAD src0_sel:WORD_1 src1_sel:DWORD
	v_fma_f16 v13, v13, v67, -v44
	v_fmac_f16_e32 v46, v14, v55
	v_fma_f16 v14, v14, v68, -v53
	v_fmac_f16_e32 v103, v15, v57
	v_mul_f16_sdwa v44, v16, v70 dst_sel:DWORD dst_unused:UNUSED_PAD src0_sel:WORD_1 src1_sel:DWORD
	v_mul_f16_sdwa v53, v16, v45 dst_sel:DWORD dst_unused:UNUSED_PAD src0_sel:WORD_1 src1_sel:DWORD
	;; [unrolled: 1-line block ×5, first 2 shown]
	v_lshrrev_b32_e32 v97, 16, v61
	v_lshrrev_b32_e32 v98, 16, v63
	;; [unrolled: 1-line block ×3, first 2 shown]
	v_fmac_f16_e32 v44, v16, v45
	v_fma_f16 v16, v16, v70, -v53
	v_fmac_f16_e32 v55, v17, v54
	v_fma_f16 v17, v17, v71, -v57
	v_fmac_f16_e32 v67, v18, v56
	v_mul_f16_sdwa v45, v18, v56 dst_sel:DWORD dst_unused:UNUSED_PAD src0_sel:WORD_1 src1_sel:DWORD
	v_mul_f16_sdwa v53, v19, v73 dst_sel:DWORD dst_unused:UNUSED_PAD src0_sel:WORD_1 src1_sel:DWORD
	;; [unrolled: 1-line block ×5, first 2 shown]
	v_lshrrev_b32_e32 v100, 16, v60
	v_lshrrev_b32_e32 v101, 16, v62
	v_fma_f16 v18, v18, v72, -v45
	v_fmac_f16_e32 v53, v19, v58
	v_fma_f16 v19, v19, v73, -v54
	v_fmac_f16_e32 v56, v8, v59
	v_fma_f16 v8, v8, v96, -v57
	v_mul_f16_sdwa v45, v9, v97 dst_sel:DWORD dst_unused:UNUSED_PAD src0_sel:WORD_1 src1_sel:DWORD
	v_mul_f16_sdwa v54, v9, v61 dst_sel:DWORD dst_unused:UNUSED_PAD src0_sel:WORD_1 src1_sel:DWORD
	;; [unrolled: 1-line block ×5, first 2 shown]
	v_lshrrev_b32_e32 v105, 16, v64
	v_fmac_f16_e32 v45, v9, v61
	v_fma_f16 v9, v9, v97, -v54
	v_fmac_f16_e32 v57, v10, v63
	v_fma_f16 v10, v10, v98, -v58
	v_fmac_f16_e32 v59, v11, v65
	v_mul_f16_sdwa v54, v11, v65 dst_sel:DWORD dst_unused:UNUSED_PAD src0_sel:WORD_1 src1_sel:DWORD
	v_mul_f16_sdwa v58, v4, v100 dst_sel:DWORD dst_unused:UNUSED_PAD src0_sel:WORD_1 src1_sel:DWORD
	v_mul_f16_sdwa v61, v4, v60 dst_sel:DWORD dst_unused:UNUSED_PAD src0_sel:WORD_1 src1_sel:DWORD
	v_mul_f16_sdwa v63, v5, v101 dst_sel:DWORD dst_unused:UNUSED_PAD src0_sel:WORD_1 src1_sel:DWORD
	v_mul_f16_sdwa v65, v5, v62 dst_sel:DWORD dst_unused:UNUSED_PAD src0_sel:WORD_1 src1_sel:DWORD
	v_lshrrev_b32_e32 v106, 16, v66
	v_fma_f16 v11, v11, v99, -v54
	v_fmac_f16_e32 v58, v4, v60
	v_fma_f16 v54, v4, v100, -v61
	v_fmac_f16_e32 v63, v5, v62
	v_fma_f16 v60, v5, v101, -v65
	v_mul_f16_sdwa v61, v6, v105 dst_sel:DWORD dst_unused:UNUSED_PAD src0_sel:WORD_1 src1_sel:DWORD
	v_mul_f16_sdwa v5, v6, v64 dst_sel:DWORD dst_unused:UNUSED_PAD src0_sel:WORD_1 src1_sel:DWORD
	v_add_f16_e32 v65, v31, v102
	v_mul_f16_sdwa v62, v7, v106 dst_sel:DWORD dst_unused:UNUSED_PAD src0_sel:WORD_1 src1_sel:DWORD
	v_fma_f16 v15, v15, v69, -v107
	v_fmac_f16_e32 v61, v6, v64
	v_fma_f16 v6, v6, v105, -v5
	v_add_f16_e32 v5, v65, v104
	v_add_f16_e32 v4, v104, v46
	v_fmac_f16_e32 v62, v7, v66
	v_sub_f16_e32 v69, v102, v104
	v_sub_f16_e32 v70, v103, v46
	v_add_f16_e32 v71, v102, v103
	v_mul_f16_sdwa v66, v7, v66 dst_sel:DWORD dst_unused:UNUSED_PAD src0_sel:WORD_1 src1_sel:DWORD
	v_add_f16_e32 v5, v5, v46
	v_fma_f16 v68, -0.5, v4, v31
	v_sub_f16_e32 v4, v12, v15
	v_sub_f16_e32 v65, v13, v14
	v_add_f16_e32 v69, v69, v70
	v_fma_f16 v31, -0.5, v71, v31
	v_fma_f16 v66, v7, v106, -v66
	v_add_f16_e32 v70, v5, v103
	v_sub_f16_e32 v5, v104, v102
	v_sub_f16_e32 v7, v46, v103
	v_add_f16_e32 v72, v43, v12
	v_fmamk_f16 v64, v4, 0xbb9c, v68
	v_fmac_f16_e32 v68, 0x3b9c, v4
	v_fmamk_f16 v71, v65, 0x3b9c, v31
	v_add_f16_e32 v73, v13, v14
	v_add_f16_e32 v5, v5, v7
	v_fmac_f16_e32 v31, 0xbb9c, v65
	v_add_f16_e32 v7, v72, v13
	v_fmac_f16_e32 v64, 0xb8b4, v65
	v_fmac_f16_e32 v68, 0x38b4, v65
	;; [unrolled: 1-line block ×3, first 2 shown]
	v_fma_f16 v65, -0.5, v73, v43
	v_sub_f16_e32 v72, v102, v103
	v_fmac_f16_e32 v31, 0x38b4, v4
	v_add_f16_e32 v4, v7, v14
	v_add_f16_e32 v7, v12, v15
	v_fmac_f16_e32 v64, 0x34f2, v69
	v_fmac_f16_e32 v68, 0x34f2, v69
	;; [unrolled: 1-line block ×3, first 2 shown]
	v_fmamk_f16 v69, v72, 0x3b9c, v65
	v_sub_f16_e32 v46, v104, v46
	v_sub_f16_e32 v73, v12, v13
	;; [unrolled: 1-line block ×3, first 2 shown]
	v_fmac_f16_e32 v31, 0x34f2, v5
	v_fmac_f16_e32 v43, -0.5, v7
	v_fmac_f16_e32 v65, 0xbb9c, v72
	v_sub_f16_e32 v5, v13, v12
	v_sub_f16_e32 v7, v14, v15
	v_add_f16_e32 v97, v4, v15
	v_fmac_f16_e32 v69, 0x38b4, v46
	v_add_f16_e32 v4, v73, v96
	v_fmac_f16_e32 v65, 0xb8b4, v46
	v_add_f16_e32 v5, v5, v7
	v_add_f16_e32 v7, v32, v44
	v_fmamk_f16 v73, v46, 0xbb9c, v43
	v_fmac_f16_e32 v69, 0x34f2, v4
	v_add_f16_e32 v12, v55, v67
	v_fmac_f16_e32 v65, 0x34f2, v4
	v_fmac_f16_e32 v43, 0x3b9c, v46
	v_add_f16_e32 v4, v7, v55
	v_lshrrev_b32_e32 v34, 16, v32
	v_fmac_f16_e32 v73, 0x38b4, v72
	v_fma_f16 v12, -0.5, v12, v32
	v_sub_f16_e32 v13, v16, v19
	v_sub_f16_e32 v15, v44, v55
	;; [unrolled: 1-line block ×3, first 2 shown]
	v_add_f16_e32 v96, v44, v53
	v_fmac_f16_e32 v43, 0xb8b4, v72
	v_add_f16_e32 v4, v4, v67
	v_fmac_f16_e32 v73, 0x34f2, v5
	v_fmamk_f16 v14, v13, 0xbb9c, v12
	v_sub_f16_e32 v7, v17, v18
	v_add_f16_e32 v15, v15, v46
	v_fmac_f16_e32 v32, -0.5, v96
	v_fmac_f16_e32 v43, 0x34f2, v5
	v_add_f16_e32 v72, v4, v53
	v_fmac_f16_e32 v12, 0x3b9c, v13
	v_sub_f16_e32 v4, v55, v44
	v_sub_f16_e32 v5, v67, v53
	v_add_f16_e32 v46, v34, v16
	v_add_f16_e32 v98, v17, v18
	v_fmac_f16_e32 v14, 0xb8b4, v7
	v_fmamk_f16 v96, v7, 0x3b9c, v32
	v_fmac_f16_e32 v12, 0x38b4, v7
	v_add_f16_e32 v4, v4, v5
	v_fmac_f16_e32 v32, 0xbb9c, v7
	v_add_f16_e32 v5, v46, v17
	v_fma_f16 v98, -0.5, v98, v34
	v_sub_f16_e32 v7, v44, v53
	v_fmac_f16_e32 v14, 0x34f2, v15
	v_fmac_f16_e32 v96, 0xb8b4, v13
	;; [unrolled: 1-line block ×4, first 2 shown]
	v_add_f16_e32 v5, v5, v18
	v_fmamk_f16 v13, v7, 0x3b9c, v98
	v_add_f16_e32 v15, v16, v19
	v_sub_f16_e32 v44, v55, v67
	v_sub_f16_e32 v46, v16, v17
	;; [unrolled: 1-line block ×3, first 2 shown]
	v_fmac_f16_e32 v98, 0xbb9c, v7
	v_fmac_f16_e32 v96, 0x34f2, v4
	;; [unrolled: 1-line block ×3, first 2 shown]
	v_fmac_f16_e32 v34, -0.5, v15
	v_add_f16_e32 v15, v5, v19
	v_fmac_f16_e32 v13, 0x38b4, v44
	v_add_f16_e32 v5, v46, v53
	v_sub_f16_e32 v4, v17, v16
	v_sub_f16_e32 v16, v18, v19
	v_add_f16_e32 v17, v45, v57
	v_fmac_f16_e32 v98, 0xb8b4, v44
	v_add_f16_e32 v18, v29, v56
	v_lshrrev_b32_e32 v33, 16, v29
	v_fmamk_f16 v55, v44, 0xbb9c, v34
	v_fmac_f16_e32 v13, 0x34f2, v5
	v_add_f16_e32 v16, v4, v16
	v_fma_f16 v4, -0.5, v17, v29
	v_sub_f16_e32 v17, v8, v11
	v_fmac_f16_e32 v98, 0x34f2, v5
	v_fmac_f16_e32 v34, 0x3b9c, v44
	v_add_f16_e32 v5, v18, v45
	v_sub_f16_e32 v44, v56, v45
	v_sub_f16_e32 v46, v59, v57
	v_add_f16_e32 v53, v56, v59
	v_fmac_f16_e32 v55, 0x38b4, v7
	v_fmamk_f16 v18, v17, 0xbb9c, v4
	v_sub_f16_e32 v19, v9, v10
	v_fmac_f16_e32 v34, 0xb8b4, v7
	v_add_f16_e32 v5, v5, v57
	v_add_f16_e32 v7, v44, v46
	v_fma_f16 v67, -0.5, v53, v29
	v_fmac_f16_e32 v4, 0x3b9c, v17
	v_add_f16_e32 v44, v33, v8
	v_fmac_f16_e32 v55, 0x34f2, v16
	v_fmac_f16_e32 v18, 0xb8b4, v19
	;; [unrolled: 1-line block ×3, first 2 shown]
	v_add_f16_e32 v16, v5, v59
	v_fmamk_f16 v99, v19, 0x3b9c, v67
	v_sub_f16_e32 v5, v45, v56
	v_sub_f16_e32 v29, v57, v59
	v_fmac_f16_e32 v4, 0x38b4, v19
	v_add_f16_e32 v46, v9, v10
	v_fmac_f16_e32 v67, 0xbb9c, v19
	v_add_f16_e32 v19, v44, v9
	;; [unrolled: 2-line block ×3, first 2 shown]
	v_fma_f16 v29, -0.5, v46, v33
	v_sub_f16_e32 v44, v56, v59
	v_fmac_f16_e32 v4, 0x34f2, v7
	v_add_f16_e32 v7, v19, v10
	v_add_f16_e32 v19, v8, v11
	v_fmac_f16_e32 v99, 0xb8b4, v17
	v_fmac_f16_e32 v67, 0x38b4, v17
	v_fmamk_f16 v17, v44, 0x3b9c, v29
	v_sub_f16_e32 v45, v45, v57
	v_sub_f16_e32 v46, v8, v9
	;; [unrolled: 1-line block ×3, first 2 shown]
	v_fmac_f16_e32 v33, -0.5, v19
	v_add_f16_e32 v19, v7, v11
	v_fmac_f16_e32 v29, 0xbb9c, v44
	v_sub_f16_e32 v7, v9, v8
	v_sub_f16_e32 v8, v10, v11
	v_add_f16_e32 v9, v63, v61
	v_fmac_f16_e32 v99, 0x34f2, v5
	v_fmac_f16_e32 v67, 0x34f2, v5
	;; [unrolled: 1-line block ×3, first 2 shown]
	v_add_f16_e32 v5, v46, v53
	v_fmamk_f16 v56, v45, 0xbb9c, v33
	v_fmac_f16_e32 v29, 0xb8b4, v45
	v_add_f16_e32 v10, v7, v8
	v_fmac_f16_e32 v33, 0x3b9c, v45
	v_add_f16_e32 v8, v30, v58
	v_fma_f16 v7, -0.5, v9, v30
	v_sub_f16_e32 v11, v54, v66
	v_fmac_f16_e32 v17, 0x34f2, v5
	v_fmac_f16_e32 v56, 0x38b4, v44
	;; [unrolled: 1-line block ×4, first 2 shown]
	v_add_f16_e32 v5, v8, v63
	v_fmamk_f16 v8, v11, 0xbb9c, v7
	v_sub_f16_e32 v44, v60, v6
	v_sub_f16_e32 v9, v58, v63
	;; [unrolled: 1-line block ×3, first 2 shown]
	v_fmac_f16_e32 v7, 0x3b9c, v11
	v_add_f16_e32 v46, v58, v62
	v_lshrrev_b32_e32 v37, 16, v30
	v_fmac_f16_e32 v8, 0xb8b4, v44
	v_add_f16_e32 v9, v9, v45
	v_fmac_f16_e32 v7, 0x38b4, v44
	v_fmac_f16_e32 v30, -0.5, v46
	v_add_f16_e32 v53, v37, v54
	v_fmac_f16_e32 v56, 0x34f2, v10
	v_fmac_f16_e32 v8, 0x34f2, v9
	;; [unrolled: 1-line block ×3, first 2 shown]
	v_fmamk_f16 v9, v44, 0x3b9c, v30
	v_fmac_f16_e32 v30, 0xbb9c, v44
	v_fmac_f16_e32 v33, 0x34f2, v10
	v_add_f16_e32 v10, v60, v6
	v_sub_f16_e32 v45, v63, v58
	v_sub_f16_e32 v46, v61, v62
	v_fmac_f16_e32 v9, 0xb8b4, v11
	v_fmac_f16_e32 v30, 0x38b4, v11
	v_add_f16_e32 v11, v53, v60
	v_add_f16_e32 v53, v54, v66
	v_fma_f16 v44, -0.5, v10, v37
	v_add_f16_e32 v46, v45, v46
	v_sub_f16_e32 v57, v63, v61
	v_sub_f16_e32 v10, v58, v62
	v_fmac_f16_e32 v37, -0.5, v53
	v_add_f16_e32 v11, v11, v6
	v_fmac_f16_e32 v9, 0x34f2, v46
	v_fmac_f16_e32 v30, 0x34f2, v46
	v_sub_f16_e32 v53, v54, v60
	v_sub_f16_e32 v58, v66, v6
	v_fmamk_f16 v46, v57, 0xbb9c, v37
	v_sub_f16_e32 v54, v60, v54
	v_sub_f16_e32 v6, v6, v66
	v_fmac_f16_e32 v37, 0x3b9c, v57
	v_fmamk_f16 v45, v10, 0x3b9c, v44
	v_fmac_f16_e32 v46, 0x38b4, v10
	v_fmac_f16_e32 v44, 0xbb9c, v10
	v_add_f16_e32 v6, v54, v6
	v_fmac_f16_e32 v37, 0xb8b4, v10
	v_pack_b32_f16 v10, v64, v69
	v_add_f16_e32 v58, v53, v58
	v_add_f16_e32 v53, v11, v66
	v_fmac_f16_e32 v46, 0x34f2, v6
	v_fmac_f16_e32 v37, 0x34f2, v6
	v_pack_b32_f16 v6, v70, v97
	v_pack_b32_f16 v11, v71, v73
	;; [unrolled: 1-line block ×3, first 2 shown]
	v_add_f16_e32 v5, v5, v61
	v_fmac_f16_e32 v45, 0x38b4, v57
	v_fmac_f16_e32 v44, 0xb8b4, v57
	ds_write2_b32 v150, v6, v10 offset1:36
	ds_write2_b32 v150, v11, v31 offset0:72 offset1:108
	v_pack_b32_f16 v6, v68, v65
	v_pack_b32_f16 v10, v72, v15
	;; [unrolled: 1-line block ×3, first 2 shown]
	v_add_f16_e32 v5, v5, v62
	v_fmac_f16_e32 v45, 0x34f2, v58
	v_pack_b32_f16 v13, v96, v55
	v_pack_b32_f16 v14, v32, v34
	;; [unrolled: 1-line block ×3, first 2 shown]
	v_fmac_f16_e32 v44, 0x34f2, v58
	v_pack_b32_f16 v15, v16, v19
	v_pack_b32_f16 v16, v18, v17
	ds_write_b32 v150, v6 offset:576
	ds_write2_b32 v152, v10, v11 offset1:36
	ds_write2_b32 v152, v13, v14 offset0:72 offset1:108
	ds_write_b32 v152, v12 offset:576
	ds_write2_b32 v151, v15, v16 offset1:36
	v_pack_b32_f16 v6, v99, v56
	v_pack_b32_f16 v10, v67, v33
	;; [unrolled: 1-line block ×8, first 2 shown]
	ds_write2_b32 v151, v6, v10 offset0:72 offset1:108
	ds_write_b32 v151, v11 offset:576
	ds_write2_b32 v154, v12, v13 offset1:36
	ds_write2_b32 v154, v14, v15 offset0:72 offset1:108
	ds_write_b32 v154, v16 offset:576
	s_waitcnt lgkmcnt(0)
	s_barrier
	buffer_gl0_inv
	ds_read2_b32 v[10:11], v75 offset1:63
	ds_read2_b32 v[33:34], v75 offset0:180 offset1:243
	ds_read2_b32 v[16:17], v39 offset0:104 offset1:167
	;; [unrolled: 1-line block ×6, first 2 shown]
	s_and_saveexec_b32 s1, s0
	s_cbranch_execz .LBB0_23
; %bb.22:
	v_add_nc_u32_e32 v4, 0x100, v75
	v_add_nc_u32_e32 v6, 0x700, v75
	;; [unrolled: 1-line block ×3, first 2 shown]
	ds_read_b32 v35, v75 offset:4824
	ds_read2_b32 v[4:5], v4 offset0:62 offset1:242
	ds_read2_b32 v[8:9], v6 offset0:38 offset1:218
	;; [unrolled: 1-line block ×3, first 2 shown]
	s_waitcnt lgkmcnt(3)
	v_lshrrev_b32_e32 v36, 16, v35
	s_waitcnt lgkmcnt(2)
	v_lshrrev_b32_e32 v29, 16, v4
	v_lshrrev_b32_e32 v53, 16, v5
	s_waitcnt lgkmcnt(1)
	v_lshrrev_b32_e32 v45, 16, v8
	;; [unrolled: 3-line block ×3, first 2 shown]
	v_lshrrev_b32_e32 v44, 16, v7
	v_mov_b32_e32 v30, v6
.LBB0_23:
	s_or_b32 exec_lo, exec_lo, s1
	s_waitcnt lgkmcnt(5)
	v_lshrrev_b32_e32 v6, 16, v33
	s_waitcnt lgkmcnt(4)
	v_lshrrev_b32_e32 v38, 16, v16
	;; [unrolled: 2-line block ×4, first 2 shown]
	v_mul_f16_sdwa v59, v24, v33 dst_sel:DWORD dst_unused:UNUSED_PAD src0_sel:WORD_1 src1_sel:DWORD
	v_mul_f16_sdwa v58, v24, v6 dst_sel:DWORD dst_unused:UNUSED_PAD src0_sel:WORD_1 src1_sel:DWORD
	;; [unrolled: 1-line block ×4, first 2 shown]
	s_waitcnt lgkmcnt(1)
	v_lshrrev_b32_e32 v41, 16, v12
	s_waitcnt lgkmcnt(0)
	v_lshrrev_b32_e32 v42, 16, v14
	v_lshrrev_b32_e32 v43, 16, v34
	v_fmac_f16_e32 v58, v24, v33
	v_fma_f16 v6, v24, v6, -v59
	v_fmac_f16_e32 v60, v25, v16
	v_fma_f16 v16, v25, v38, -v61
	v_mul_f16_sdwa v24, v26, v39 dst_sel:DWORD dst_unused:UNUSED_PAD src0_sel:WORD_1 src1_sel:DWORD
	v_mul_f16_sdwa v25, v26, v31 dst_sel:DWORD dst_unused:UNUSED_PAD src0_sel:WORD_1 src1_sel:DWORD
	;; [unrolled: 1-line block ×4, first 2 shown]
	v_lshrrev_b32_e32 v54, 16, v17
	v_lshrrev_b32_e32 v55, 16, v32
	;; [unrolled: 1-line block ×3, first 2 shown]
	v_mul_f16_sdwa v59, v49, v41 dst_sel:DWORD dst_unused:UNUSED_PAD src0_sel:WORD_1 src1_sel:DWORD
	v_fmac_f16_e32 v24, v26, v31
	v_fma_f16 v25, v26, v39, -v25
	v_fmac_f16_e32 v33, v27, v18
	v_fma_f16 v18, v27, v40, -v38
	v_mul_f16_sdwa v26, v50, v42 dst_sel:DWORD dst_unused:UNUSED_PAD src0_sel:WORD_1 src1_sel:DWORD
	v_mul_f16_sdwa v27, v50, v14 dst_sel:DWORD dst_unused:UNUSED_PAD src0_sel:WORD_1 src1_sel:DWORD
	;; [unrolled: 1-line block ×4, first 2 shown]
	v_lshrrev_b32_e32 v57, 16, v13
	v_lshrrev_b32_e32 v62, 16, v15
	v_fmac_f16_e32 v59, v49, v12
	v_mul_f16_sdwa v12, v49, v12 dst_sel:DWORD dst_unused:UNUSED_PAD src0_sel:WORD_1 src1_sel:DWORD
	v_fmac_f16_e32 v26, v50, v14
	v_fma_f16 v14, v50, v42, -v27
	v_fmac_f16_e32 v31, v20, v34
	v_fma_f16 v20, v20, v43, -v38
	v_mul_f16_sdwa v27, v21, v54 dst_sel:DWORD dst_unused:UNUSED_PAD src0_sel:WORD_1 src1_sel:DWORD
	v_mul_f16_sdwa v34, v21, v17 dst_sel:DWORD dst_unused:UNUSED_PAD src0_sel:WORD_1 src1_sel:DWORD
	v_mul_f16_sdwa v38, v22, v55 dst_sel:DWORD dst_unused:UNUSED_PAD src0_sel:WORD_1 src1_sel:DWORD
	v_mul_f16_sdwa v39, v22, v32 dst_sel:DWORD dst_unused:UNUSED_PAD src0_sel:WORD_1 src1_sel:DWORD
	v_mul_f16_sdwa v40, v23, v56 dst_sel:DWORD dst_unused:UNUSED_PAD src0_sel:WORD_1 src1_sel:DWORD
	v_fma_f16 v12, v49, v41, -v12
	v_fmac_f16_e32 v27, v21, v17
	v_fma_f16 v17, v21, v54, -v34
	v_fmac_f16_e32 v38, v22, v32
	;; [unrolled: 2-line block ×3, first 2 shown]
	v_mul_f16_sdwa v19, v23, v19 dst_sel:DWORD dst_unused:UNUSED_PAD src0_sel:WORD_1 src1_sel:DWORD
	v_mul_f16_sdwa v22, v51, v57 dst_sel:DWORD dst_unused:UNUSED_PAD src0_sel:WORD_1 src1_sel:DWORD
	;; [unrolled: 1-line block ×5, first 2 shown]
	v_fma_f16 v19, v23, v56, -v19
	v_fmac_f16_e32 v22, v51, v13
	v_fma_f16 v13, v51, v57, -v32
	v_fmac_f16_e32 v34, v52, v15
	v_fma_f16 v15, v52, v62, -v39
	v_add_f16_e32 v23, v58, v26
	v_add_f16_e32 v32, v6, v14
	v_sub_f16_e32 v6, v6, v14
	v_add_f16_e32 v14, v60, v59
	v_add_f16_e32 v39, v16, v12
	v_sub_f16_e32 v26, v58, v26
	v_sub_f16_e32 v41, v60, v59
	;; [unrolled: 1-line block ×3, first 2 shown]
	v_add_f16_e32 v16, v24, v33
	v_add_f16_e32 v42, v25, v18
	v_sub_f16_e32 v24, v33, v24
	v_sub_f16_e32 v18, v18, v25
	v_add_f16_e32 v25, v14, v23
	v_add_f16_e32 v33, v39, v32
	v_sub_f16_e32 v43, v14, v23
	v_sub_f16_e32 v49, v39, v32
	;; [unrolled: 1-line block ×6, first 2 shown]
	v_add_f16_e32 v50, v24, v41
	v_add_f16_e32 v51, v18, v12
	v_sub_f16_e32 v52, v24, v41
	v_sub_f16_e32 v54, v18, v12
	;; [unrolled: 1-line block ×3, first 2 shown]
	v_add_f16_e32 v16, v16, v25
	v_add_f16_e32 v25, v42, v33
	v_sub_f16_e32 v12, v12, v6
	v_sub_f16_e32 v24, v26, v24
	;; [unrolled: 1-line block ×3, first 2 shown]
	v_add_f16_e32 v26, v50, v26
	v_add_f16_e32 v6, v51, v6
	;; [unrolled: 1-line block ×3, first 2 shown]
	v_add_f16_sdwa v10, v10, v25 dst_sel:DWORD dst_unused:UNUSED_PAD src0_sel:WORD_1 src1_sel:DWORD
	v_mul_f16_e32 v23, 0x3a52, v23
	v_mul_f16_e32 v32, 0x3a52, v32
	;; [unrolled: 1-line block ×8, first 2 shown]
	v_fmamk_f16 v16, v16, 0xbcab, v33
	v_fmamk_f16 v25, v25, 0xbcab, v10
	;; [unrolled: 1-line block ×4, first 2 shown]
	v_fma_f16 v42, v43, 0x39e0, -v42
	v_fma_f16 v50, v49, 0x39e0, -v50
	;; [unrolled: 1-line block ×4, first 2 shown]
	v_fmamk_f16 v43, v24, 0xb574, v51
	v_fmamk_f16 v49, v18, 0xb574, v52
	v_fma_f16 v24, v24, 0x3574, -v54
	v_fma_f16 v18, v18, 0x3574, -v55
	;; [unrolled: 1-line block ×3, first 2 shown]
	v_add_f16_e32 v14, v14, v16
	v_add_f16_e32 v39, v39, v25
	;; [unrolled: 1-line block ×5, first 2 shown]
	v_fmac_f16_e32 v43, 0xb70e, v26
	v_fmac_f16_e32 v18, 0xb70e, v6
	;; [unrolled: 1-line block ×3, first 2 shown]
	v_fma_f16 v12, v12, 0xbb00, -v52
	v_add_f16_e32 v50, v50, v25
	v_fmac_f16_e32 v41, 0xb70e, v26
	v_sub_f16_e32 v25, v39, v43
	v_add_f16_e32 v26, v18, v16
	v_sub_f16_e32 v32, v23, v24
	v_sub_f16_e32 v16, v16, v18
	v_add_f16_e32 v18, v24, v23
	v_add_f16_e32 v23, v43, v39
	;; [unrolled: 1-line block ×4, first 2 shown]
	v_sub_f16_e32 v31, v31, v34
	v_sub_f16_e32 v15, v20, v15
	v_add_f16_e32 v20, v27, v22
	v_add_f16_e32 v34, v17, v13
	v_fmac_f16_e32 v49, 0xb70e, v6
	v_fmac_f16_e32 v12, 0xb70e, v6
	v_sub_f16_e32 v22, v27, v22
	v_sub_f16_e32 v13, v17, v13
	v_add_f16_e32 v17, v38, v40
	v_add_f16_e32 v27, v21, v19
	v_sub_f16_e32 v38, v40, v38
	v_sub_f16_e32 v19, v19, v21
	v_add_f16_e32 v21, v20, v24
	v_add_f16_e32 v40, v34, v39
	;; [unrolled: 1-line block ×3, first 2 shown]
	v_sub_f16_e32 v51, v42, v12
	v_add_f16_e32 v52, v41, v50
	v_add_f16_e32 v12, v12, v42
	v_sub_f16_e32 v41, v50, v41
	v_sub_f16_e32 v14, v14, v49
	;; [unrolled: 1-line block ×8, first 2 shown]
	v_add_f16_e32 v49, v38, v22
	v_add_f16_e32 v50, v19, v13
	v_sub_f16_e32 v54, v38, v22
	v_sub_f16_e32 v55, v19, v13
	;; [unrolled: 1-line block ×3, first 2 shown]
	v_add_f16_e32 v17, v17, v21
	v_add_f16_e32 v21, v27, v40
	v_sub_f16_e32 v13, v13, v15
	v_sub_f16_e32 v38, v31, v38
	;; [unrolled: 1-line block ×3, first 2 shown]
	v_add_f16_e32 v27, v49, v31
	v_add_f16_e32 v15, v50, v15
	;; [unrolled: 1-line block ×3, first 2 shown]
	v_add_f16_sdwa v11, v11, v21 dst_sel:DWORD dst_unused:UNUSED_PAD src0_sel:WORD_1 src1_sel:DWORD
	v_mul_f16_e32 v24, 0x3a52, v24
	v_mul_f16_e32 v39, 0x3a52, v39
	;; [unrolled: 1-line block ×8, first 2 shown]
	v_fmamk_f16 v17, v17, 0xbcab, v31
	v_fmamk_f16 v21, v21, 0xbcab, v11
	;; [unrolled: 1-line block ×4, first 2 shown]
	v_fma_f16 v40, v42, 0x39e0, -v40
	v_fma_f16 v49, v43, 0x39e0, -v49
	;; [unrolled: 1-line block ×4, first 2 shown]
	v_fmamk_f16 v42, v38, 0xb574, v50
	v_fmamk_f16 v43, v19, 0xb574, v54
	v_fma_f16 v38, v38, 0x3574, -v55
	v_fma_f16 v19, v19, 0x3574, -v56
	;; [unrolled: 1-line block ×4, first 2 shown]
	v_add_f16_e32 v20, v20, v17
	v_add_f16_e32 v34, v34, v21
	v_add_f16_e32 v40, v40, v17
	v_add_f16_e32 v49, v49, v21
	v_add_f16_e32 v17, v24, v17
	v_add_f16_e32 v21, v39, v21
	v_fmac_f16_e32 v19, 0xb70e, v15
	v_fmac_f16_e32 v38, 0xb70e, v27
	;; [unrolled: 1-line block ×4, first 2 shown]
	v_pack_b32_f16 v6, v6, v25
	v_fmac_f16_e32 v22, 0xb70e, v27
	v_fmac_f16_e32 v13, 0xb70e, v15
	v_add_f16_e32 v27, v19, v17
	v_sub_f16_e32 v39, v21, v38
	v_sub_f16_e32 v17, v17, v19
	v_add_f16_e32 v19, v38, v21
	v_pack_b32_f16 v21, v26, v32
	v_pack_b32_f16 v25, v51, v52
	v_add_f16_e32 v15, v43, v20
	v_sub_f16_e32 v24, v34, v42
	ds_write_b32 v75, v6 offset:720
	ds_write_b32 v75, v21 offset:1440
	;; [unrolled: 1-line block ×3, first 2 shown]
	v_pack_b32_f16 v6, v12, v41
	v_sub_f16_e32 v50, v40, v13
	v_add_f16_e32 v54, v22, v49
	v_pack_b32_f16 v12, v16, v18
	v_add_f16_e32 v13, v13, v40
	v_sub_f16_e32 v22, v49, v22
	v_pack_b32_f16 v14, v14, v23
	v_pack_b32_f16 v10, v33, v10
	;; [unrolled: 1-line block ×3, first 2 shown]
	v_sub_f16_e32 v20, v20, v43
	v_add_f16_e32 v26, v42, v34
	v_pack_b32_f16 v15, v15, v24
	ds_write_b32 v75, v6 offset:2880
	ds_write_b32 v75, v12 offset:3600
	;; [unrolled: 1-line block ×3, first 2 shown]
	ds_write2_b32 v75, v10, v11 offset1:63
	ds_write_b32 v75, v15 offset:972
	v_pack_b32_f16 v6, v27, v39
	v_pack_b32_f16 v10, v50, v54
	;; [unrolled: 1-line block ×5, first 2 shown]
	ds_write_b32 v75, v6 offset:1692
	ds_write_b32 v75, v10 offset:2412
	;; [unrolled: 1-line block ×5, first 2 shown]
	s_and_saveexec_b32 s1, s0
	s_cbranch_execz .LBB0_25
; %bb.24:
	v_mul_f16_sdwa v6, v0, v53 dst_sel:DWORD dst_unused:UNUSED_PAD src0_sel:WORD_1 src1_sel:DWORD
	v_mul_f16_sdwa v10, v3, v37 dst_sel:DWORD dst_unused:UNUSED_PAD src0_sel:WORD_1 src1_sel:DWORD
	;; [unrolled: 1-line block ×6, first 2 shown]
	v_fmac_f16_e32 v10, v3, v30
	v_fmac_f16_e32 v11, v2, v9
	;; [unrolled: 1-line block ×6, first 2 shown]
	v_mul_f16_sdwa v17, v48, v35 dst_sel:DWORD dst_unused:UNUSED_PAD src0_sel:WORD_1 src1_sel:DWORD
	v_mul_f16_sdwa v5, v0, v5 dst_sel:DWORD dst_unused:UNUSED_PAD src0_sel:WORD_1 src1_sel:DWORD
	;; [unrolled: 1-line block ×4, first 2 shown]
	v_sub_f16_e32 v15, v10, v11
	v_sub_f16_e32 v16, v12, v13
	;; [unrolled: 1-line block ×3, first 2 shown]
	v_fma_f16 v17, v48, v36, -v17
	v_fma_f16 v0, v0, v53, -v5
	v_mul_f16_sdwa v5, v2, v9 dst_sel:DWORD dst_unused:UNUSED_PAD src0_sel:WORD_1 src1_sel:DWORD
	v_mul_f16_sdwa v9, v3, v30 dst_sel:DWORD dst_unused:UNUSED_PAD src0_sel:WORD_1 src1_sel:DWORD
	v_fma_f16 v7, v47, v44, -v7
	v_fma_f16 v1, v1, v45, -v8
	v_sub_f16_e32 v19, v15, v16
	v_sub_f16_e32 v20, v18, v15
	v_add_f16_e32 v8, v15, v16
	v_add_f16_e32 v15, v17, v0
	v_fma_f16 v2, v2, v46, -v5
	v_fma_f16 v3, v3, v37, -v9
	v_add_f16_e32 v5, v7, v1
	v_add_f16_e32 v6, v14, v6
	;; [unrolled: 1-line block ×6, first 2 shown]
	v_sub_f16_e32 v2, v3, v2
	v_sub_f16_e32 v1, v1, v7
	v_sub_f16_e32 v24, v6, v10
	v_sub_f16_e32 v23, v15, v21
	v_add_f16_e32 v22, v21, v22
	v_sub_f16_e32 v13, v21, v5
	v_add_f16_e32 v21, v12, v6
	v_sub_f16_e32 v0, v0, v17
	v_sub_f16_e32 v7, v10, v12
	v_mul_f16_e32 v14, 0x3a52, v23
	v_mul_f16_e32 v3, 0x3a52, v24
	v_add_f16_e32 v21, v10, v21
	v_sub_f16_e32 v10, v2, v1
	v_sub_f16_e32 v24, v0, v2
	;; [unrolled: 1-line block ×3, first 2 shown]
	v_add_f16_e32 v2, v2, v1
	v_sub_f16_e32 v5, v5, v15
	v_sub_f16_e32 v1, v1, v0
	v_mul_f16_e32 v19, 0x3846, v19
	v_add_f16_e32 v11, v29, v22
	v_add_f16_e32 v4, v4, v21
	v_mul_f16_e32 v10, 0x3846, v10
	v_mul_f16_e32 v23, 0x2b26, v13
	v_fmamk_f16 v13, v13, 0x2b26, v14
	v_fmamk_f16 v17, v7, 0x2b26, v3
	v_mul_f16_e32 v7, 0x2b26, v7
	v_mul_f16_e32 v26, 0xbb00, v16
	v_sub_f16_e32 v6, v12, v6
	v_fma_f16 v12, v5, 0xb9e0, -v14
	v_mul_f16_e32 v14, 0xbb00, v1
	v_fmamk_f16 v9, v20, 0xb574, v19
	v_add_f16_e32 v8, v8, v18
	v_fmamk_f16 v22, v22, 0xbcab, v11
	v_fmamk_f16 v21, v21, 0xbcab, v4
	v_fmamk_f16 v18, v24, 0xb574, v10
	v_add_f16_e32 v0, v2, v0
	v_fma_f16 v2, v20, 0x3574, -v26
	v_fma_f16 v3, v6, 0xb9e0, -v3
	;; [unrolled: 1-line block ×7, first 2 shown]
	v_fmac_f16_e32 v9, 0xb70e, v8
	v_add_f16_e32 v13, v13, v22
	v_add_f16_e32 v17, v17, v21
	v_fmac_f16_e32 v18, 0xb70e, v0
	v_fmac_f16_e32 v2, 0xb70e, v8
	v_add_f16_e32 v12, v12, v22
	v_add_f16_e32 v3, v3, v21
	v_fmac_f16_e32 v14, 0xb70e, v0
	v_add_f16_e32 v5, v5, v22
	v_fmac_f16_e32 v15, 0xb70e, v8
	v_fmac_f16_e32 v1, 0xb70e, v0
	v_add_f16_e32 v0, v6, v21
	v_add_f16_e32 v25, v9, v13
	v_sub_f16_e32 v9, v13, v9
	v_add_f16_e32 v13, v18, v17
	v_add_f16_e32 v7, v2, v12
	v_sub_f16_e32 v8, v3, v14
	v_sub_f16_e32 v10, v5, v15
	v_add_f16_e32 v16, v1, v0
	v_add_f16_e32 v5, v15, v5
	v_sub_f16_e32 v2, v12, v2
	v_add_f16_e32 v3, v14, v3
	v_sub_f16_e32 v0, v0, v1
	v_sub_f16_e32 v6, v17, v18
	v_pack_b32_f16 v1, v4, v11
	v_pack_b32_f16 v4, v13, v9
	v_add_nc_u32_e32 v9, 0x100, v75
	v_pack_b32_f16 v2, v3, v2
	v_pack_b32_f16 v0, v0, v5
	v_add_nc_u32_e32 v3, 0x700, v75
	;; [unrolled: 3-line block ×3, first 2 shown]
	v_pack_b32_f16 v6, v6, v25
	ds_write2_b32 v9, v1, v4 offset0:62 offset1:242
	ds_write2_b32 v3, v2, v0 offset0:38 offset1:218
	;; [unrolled: 1-line block ×3, first 2 shown]
	ds_write_b32 v75, v6 offset:4824
.LBB0_25:
	s_or_b32 exec_lo, exec_lo, s1
	s_waitcnt lgkmcnt(0)
	s_barrier
	buffer_gl0_inv
	ds_read2_b32 v[0:1], v75 offset1:63
	v_add_nc_u32_e32 v2, 0x800, v75
	s_mov_b32 s4, 0x1a01a01a
	s_mov_b32 s5, 0x3f4a01a0
	s_mul_i32 s7, s8, 0xfffff724
	ds_read2_b32 v[2:3], v2 offset0:118 offset1:181
	s_waitcnt lgkmcnt(1)
	v_lshrrev_b32_e32 v4, 16, v0
	v_mul_f16_sdwa v5, v95, v0 dst_sel:DWORD dst_unused:UNUSED_PAD src0_sel:WORD_1 src1_sel:DWORD
	v_lshrrev_b32_e32 v21, 16, v1
	v_mul_f16_sdwa v6, v95, v4 dst_sel:DWORD dst_unused:UNUSED_PAD src0_sel:WORD_1 src1_sel:DWORD
	v_fma_f16 v4, v95, v4, -v5
	s_waitcnt lgkmcnt(0)
	v_lshrrev_b32_e32 v8, 16, v2
	v_mul_f16_sdwa v9, v93, v2 dst_sel:DWORD dst_unused:UNUSED_PAD src0_sel:WORD_1 src1_sel:DWORD
	v_mul_f16_sdwa v14, v94, v21 dst_sel:DWORD dst_unused:UNUSED_PAD src0_sel:WORD_1 src1_sel:DWORD
	v_fmac_f16_e32 v6, v95, v0
	v_cvt_f32_f16_e32 v0, v4
	v_mul_f16_sdwa v15, v93, v8 dst_sel:DWORD dst_unused:UNUSED_PAD src0_sel:WORD_1 src1_sel:DWORD
	v_fmac_f16_e32 v14, v94, v1
	v_cvt_f32_f16_e32 v10, v6
	v_cvt_f64_f32_e32 v[4:5], v0
	v_fma_f16 v0, v93, v8, -v9
	v_mad_u64_u32 v[6:7], null, s10, v28, 0
	v_cvt_f64_f32_e32 v[8:9], v10
	v_fmac_f16_e32 v15, v93, v2
	v_cvt_f32_f16_e32 v0, v0
	v_mad_u64_u32 v[10:11], null, s8, v92, 0
	v_cvt_f32_f16_e32 v17, v15
	v_cvt_f64_f32_e32 v[12:13], v0
	v_mov_b32_e32 v0, v7
	v_cvt_f32_f16_e32 v7, v14
	v_cvt_f64_f32_e32 v[17:18], v17
	v_mov_b32_e32 v2, v11
	v_mad_u64_u32 v[14:15], null, s11, v28, v[0:1]
	v_cvt_f64_f32_e32 v[15:16], v7
	v_mul_f16_sdwa v0, v94, v1 dst_sel:DWORD dst_unused:UNUSED_PAD src0_sel:WORD_1 src1_sel:DWORD
	v_mad_u64_u32 v[19:20], null, s9, v92, v[2:3]
	v_mul_f64 v[4:5], v[4:5], s[4:5]
	v_mov_b32_e32 v7, v14
	v_mul_f64 v[8:9], v[8:9], s[4:5]
	v_fma_f16 v2, v94, v21, -v0
	v_mov_b32_e32 v11, v19
	v_lshlrev_b64 v[0:1], 2, v[6:7]
	v_cvt_f32_f16_e32 v2, v2
	v_mul_f64 v[6:7], v[12:13], s[4:5]
	v_lshlrev_b64 v[10:11], 2, v[10:11]
	v_add_co_u32 v14, vcc_lo, s2, v0
	v_mul_f64 v[12:13], v[17:18], s[4:5]
	v_add_co_ci_u32_e32 v19, vcc_lo, s3, v1, vcc_lo
	v_mul_f64 v[0:1], v[15:16], s[4:5]
	s_mul_i32 s3, s8, 0x9d8
	v_and_or_b32 v4, 0x1ff, v5, v4
	v_lshrrev_b32_e32 v15, 8, v5
	v_bfe_u32 v16, v5, 20, 11
	v_and_or_b32 v8, 0x1ff, v9, v8
	v_lshrrev_b32_e32 v17, 8, v9
	v_cmp_ne_u32_e32 vcc_lo, 0, v4
	v_bfe_u32 v18, v9, 20, 11
	v_sub_nc_u32_e32 v20, 0x3f1, v16
	v_add_nc_u32_e32 v16, 0xfffffc10, v16
	v_lshrrev_b32_e32 v9, 16, v9
	v_cndmask_b32_e64 v4, 0, 1, vcc_lo
	v_cmp_ne_u32_e32 vcc_lo, 0, v8
	v_and_or_b32 v6, 0x1ff, v7, v6
	v_bfe_u32 v22, v7, 20, 11
	v_sub_nc_u32_e32 v23, 0x3f1, v18
	v_and_or_b32 v4, 0xffe, v15, v4
	v_cndmask_b32_e64 v8, 0, 1, vcc_lo
	v_cmp_ne_u32_e32 vcc_lo, 0, v6
	v_lshrrev_b32_e32 v21, 8, v7
	v_and_or_b32 v12, 0x1ff, v13, v12
	v_sub_nc_u32_e32 v25, 0x3f1, v22
	v_and_or_b32 v8, 0xffe, v17, v8
	v_cndmask_b32_e64 v6, 0, 1, vcc_lo
	v_med3_i32 v17, v23, 0, 13
	v_cmp_ne_u32_e32 vcc_lo, 0, v4
	v_med3_i32 v15, v20, 0, 13
	v_or_b32_e32 v27, 0x1000, v8
	v_or_b32_e32 v23, 0x1000, v4
	v_lshl_or_b32 v26, v16, 12, v4
	v_cndmask_b32_e64 v4, 0, 1, vcc_lo
	v_cmp_ne_u32_e32 vcc_lo, 0, v12
	v_and_or_b32 v6, 0xffe, v21, v6
	v_med3_i32 v21, v25, 0, 13
	v_lshrrev_b32_e32 v25, v17, v27
	v_add_nc_u32_e32 v18, 0xfffffc10, v18
	v_cndmask_b32_e64 v12, 0, 1, vcc_lo
	v_lshrrev_b32_e32 v30, v15, v23
	v_cmp_ne_u32_e32 vcc_lo, 0, v8
	v_lshlrev_b32_e32 v17, v17, v25
	v_lshrrev_b32_e32 v20, 8, v13
	v_bfe_u32 v24, v13, 20, 11
	v_lshl_or_b32 v29, v18, 12, v8
	v_cndmask_b32_e64 v8, 0, 1, vcc_lo
	v_lshlrev_b32_e32 v15, v15, v30
	v_cmp_ne_u32_e32 vcc_lo, v17, v27
	v_sub_nc_u32_e32 v28, 0x3f1, v24
	v_and_or_b32 v12, 0xffe, v20, v12
	v_add_nc_u32_e32 v24, 0xfffffc10, v24
	v_lshl_or_b32 v8, v8, 9, 0x7c00
	v_cndmask_b32_e64 v17, 0, 1, vcc_lo
	v_cmp_ne_u32_e32 vcc_lo, v15, v23
	v_med3_i32 v20, v28, 0, 13
	v_or_b32_e32 v27, 0x1000, v12
	v_or_b32_e32 v23, 0x1000, v6
	v_or_b32_e32 v17, v25, v17
	v_cndmask_b32_e64 v15, 0, 1, vcc_lo
	v_cmp_gt_i32_e32 vcc_lo, 1, v18
	v_lshrrev_b32_e32 v25, v20, v27
	v_lshl_or_b32 v4, v4, 9, 0x7c00
	v_lshrrev_b32_e32 v5, 16, v5
	v_or_b32_e32 v15, v30, v15
	v_cndmask_b32_e32 v17, v29, v17, vcc_lo
	v_cmp_gt_i32_e32 vcc_lo, 1, v16
	v_lshlrev_b32_e32 v20, v20, v25
	v_and_or_b32 v0, 0x1ff, v1, v0
	v_lshrrev_b32_e32 v7, 16, v7
	v_and_b32_e32 v28, 7, v17
	v_cndmask_b32_e32 v15, v26, v15, vcc_lo
	v_cmp_ne_u32_e32 vcc_lo, v20, v27
	v_lshrrev_b32_e32 v17, 2, v17
	v_lshl_or_b32 v26, v24, 12, v12
	v_cmp_eq_u32_e64 s0, 3, v28
	v_and_b32_e32 v27, 7, v15
	v_cndmask_b32_e64 v20, 0, 1, vcc_lo
	v_cmp_lt_i32_e32 vcc_lo, 5, v28
	v_lshrrev_b32_e32 v15, 2, v15
	v_cmp_lt_i32_e64 s1, 5, v27
	v_cmp_eq_u32_e64 s2, 3, v27
	s_or_b32 vcc_lo, s0, vcc_lo
	v_or_b32_e32 v20, v25, v20
	v_add_co_ci_u32_e32 v17, vcc_lo, 0, v17, vcc_lo
	s_or_b32 vcc_lo, s2, s1
	s_mul_hi_u32 s2, s8, 0x9d8
	v_add_co_ci_u32_e32 v15, vcc_lo, 0, v15, vcc_lo
	v_cmp_gt_i32_e32 vcc_lo, 31, v18
	v_cndmask_b32_e32 v17, 0x7c00, v17, vcc_lo
	v_cmp_gt_i32_e32 vcc_lo, 1, v24
	v_cndmask_b32_e32 v20, v26, v20, vcc_lo
	v_cmp_gt_i32_e32 vcc_lo, 31, v16
	v_cndmask_b32_e32 v15, 0x7c00, v15, vcc_lo
	v_cmp_eq_u32_e32 vcc_lo, 0x40f, v18
	v_and_b32_e32 v18, 7, v20
	v_cndmask_b32_e32 v8, v17, v8, vcc_lo
	v_lshrrev_b32_e32 v17, v21, v23
	v_cmp_eq_u32_e32 vcc_lo, 0x40f, v16
	v_cmp_eq_u32_e64 s0, 3, v18
	v_and_or_b32 v8, 0x8000, v9, v8
	v_lshlrev_b32_e32 v9, v21, v17
	v_cndmask_b32_e32 v4, v15, v4, vcc_lo
	v_cmp_lt_i32_e32 vcc_lo, 5, v18
	v_add_nc_u32_e32 v15, 0xfffffc10, v22
	v_cmp_ne_u32_e64 s1, v9, v23
	v_and_or_b32 v4, 0x8000, v5, v4
	v_and_b32_e32 v5, 0xffff, v8
	v_lshrrev_b32_e32 v9, 2, v20
	s_or_b32 vcc_lo, s0, vcc_lo
	v_cndmask_b32_e64 v8, 0, 1, s1
	v_cmp_ne_u32_e64 s1, 0, v0
	v_lshl_or_b32 v16, v4, 16, v5
	v_cvt_f64_f32_e32 v[4:5], v2
	v_add_co_ci_u32_e32 v2, vcc_lo, 0, v9, vcc_lo
	v_cmp_ne_u32_e32 vcc_lo, 0, v12
	v_or_b32_e32 v8, v17, v8
	v_lshl_or_b32 v12, v15, 12, v6
	v_cndmask_b32_e64 v0, 0, 1, s1
	v_cndmask_b32_e64 v9, 0, 1, vcc_lo
	v_cmp_gt_i32_e32 vcc_lo, 31, v24
	v_lshl_or_b32 v17, v9, 9, 0x7c00
	v_cndmask_b32_e32 v2, 0x7c00, v2, vcc_lo
	v_cmp_gt_i32_e32 vcc_lo, 1, v15
	v_cndmask_b32_e32 v12, v12, v8, vcc_lo
	v_add_co_u32 v8, vcc_lo, v14, v10
	v_add_co_ci_u32_e32 v9, vcc_lo, v19, v11, vcc_lo
	v_cmp_eq_u32_e32 vcc_lo, 0x40f, v24
	v_and_b32_e32 v11, 7, v12
	v_lshrrev_b32_e32 v10, 16, v13
	v_mul_f64 v[4:5], v[4:5], s[4:5]
	v_lshrrev_b32_e32 v14, 16, v3
	v_cndmask_b32_e32 v2, v2, v17, vcc_lo
	v_cmp_lt_i32_e32 vcc_lo, 5, v11
	v_cmp_eq_u32_e64 s0, 3, v11
	v_lshrrev_b32_e32 v11, 8, v1
	v_mul_f16_sdwa v17, v91, v14 dst_sel:DWORD dst_unused:UNUSED_PAD src0_sel:WORD_1 src1_sel:DWORD
	v_and_or_b32 v2, 0x8000, v10, v2
	v_lshrrev_b32_e32 v10, 2, v12
	s_or_b32 vcc_lo, s0, vcc_lo
	v_bfe_u32 v12, v1, 20, 11
	v_and_or_b32 v0, 0xffe, v11, v0
	global_store_dword v[8:9], v16, off
	v_add_co_ci_u32_e32 v10, vcc_lo, 0, v10, vcc_lo
	v_cmp_ne_u32_e32 vcc_lo, 0, v6
	v_sub_nc_u32_e32 v11, 0x3f1, v12
	v_or_b32_e32 v13, 0x1000, v0
	v_fmac_f16_e32 v17, v91, v3
	v_add_nc_u32_e32 v12, 0xfffffc10, v12
	v_cndmask_b32_e64 v6, 0, 1, vcc_lo
	v_cmp_gt_i32_e32 vcc_lo, 31, v15
	v_med3_i32 v11, v11, 0, 13
	v_and_or_b32 v4, 0x1ff, v5, v4
	v_bfe_u32 v16, v5, 20, 11
	v_lshl_or_b32 v6, v6, 9, 0x7c00
	v_cndmask_b32_e32 v10, 0x7c00, v10, vcc_lo
	v_cmp_eq_u32_e32 vcc_lo, 0x40f, v15
	v_lshrrev_b32_e32 v15, 8, v5
	v_and_b32_e32 v2, 0xffff, v2
	s_mul_i32 s0, s9, 0x9d8
	v_lshrrev_b32_e32 v5, 16, v5
	v_cndmask_b32_e32 v6, v10, v6, vcc_lo
	v_lshrrev_b32_e32 v10, v11, v13
	v_cmp_ne_u32_e32 vcc_lo, 0, v4
	s_add_i32 s2, s2, s0
	v_and_or_b32 v18, 0x8000, v7, v6
	v_lshlrev_b32_e32 v11, v11, v10
	v_cndmask_b32_e64 v4, 0, 1, vcc_lo
	v_sub_nc_u32_e32 v6, 0x3f1, v16
	v_cmp_ne_u32_e32 vcc_lo, v11, v13
	v_and_or_b32 v4, 0xffe, v15, v4
	v_cvt_f32_f16_e32 v13, v17
	v_med3_i32 v15, v6, 0, 13
	v_lshl_or_b32 v17, v12, 12, v0
	v_cndmask_b32_e64 v7, 0, 1, vcc_lo
	v_or_b32_e32 v11, 0x1000, v4
	v_cmp_gt_i32_e32 vcc_lo, 1, v12
	v_or_b32_e32 v10, v10, v7
	v_cvt_f64_f32_e32 v[6:7], v13
	v_lshrrev_b32_e32 v13, v15, v11
	v_cndmask_b32_e32 v10, v17, v10, vcc_lo
	v_lshl_or_b32 v17, v18, 16, v2
	v_lshlrev_b32_e32 v15, v15, v13
	v_and_b32_e32 v18, 7, v10
	v_cmp_ne_u32_e32 vcc_lo, v15, v11
	v_mul_f16_sdwa v11, v91, v3 dst_sel:DWORD dst_unused:UNUSED_PAD src0_sel:WORD_1 src1_sel:DWORD
	v_add_nc_u32_e32 v15, 0xfffffc10, v16
	v_cmp_eq_u32_e64 s0, 3, v18
	v_cndmask_b32_e64 v2, 0, 1, vcc_lo
	v_add_co_u32 v8, vcc_lo, v8, s3
	v_add_co_ci_u32_e32 v9, vcc_lo, s2, v9, vcc_lo
	v_cmp_lt_i32_e32 vcc_lo, 5, v18
	v_or_b32_e32 v13, v13, v2
	v_mul_f64 v[2:3], v[6:7], s[4:5]
	v_lshrrev_b32_e32 v7, 2, v10
	v_fma_f16 v6, v91, v14, -v11
	s_or_b32 vcc_lo, s0, vcc_lo
	v_lshl_or_b32 v16, v15, 12, v4
	v_cmp_gt_i32_e64 s1, 1, v15
	v_add_co_ci_u32_e32 v10, vcc_lo, 0, v7, vcc_lo
	v_cmp_ne_u32_e32 vcc_lo, 0, v0
	v_cvt_f32_f16_e32 v6, v6
	v_cndmask_b32_e64 v13, v16, v13, s1
	v_cmp_eq_u32_e64 s1, 0x40f, v12
	global_store_dword v[8:9], v17, off
	v_cndmask_b32_e64 v0, 0, 1, vcc_lo
	v_cmp_gt_i32_e32 vcc_lo, 31, v12
	v_cvt_f64_f32_e32 v[6:7], v6
	v_and_b32_e32 v14, 7, v13
	v_lshl_or_b32 v0, v0, 9, 0x7c00
	v_cndmask_b32_e32 v16, 0x7c00, v10, vcc_lo
	ds_read2_b32 v[10:11], v75 offset0:126 offset1:189
	v_cmp_lt_i32_e32 vcc_lo, 5, v14
	v_cmp_eq_u32_e64 s0, 3, v14
	v_and_or_b32 v2, 0x1ff, v3, v2
	v_cndmask_b32_e64 v12, v16, v0, s1
	v_lshrrev_b32_e32 v0, 2, v13
	v_lshrrev_b32_e32 v16, 8, v3
	s_or_b32 vcc_lo, s0, vcc_lo
	v_bfe_u32 v18, v3, 20, 11
	v_lshrrev_b32_e32 v13, 16, v1
	v_add_co_ci_u32_e32 v14, vcc_lo, 0, v0, vcc_lo
	v_cmp_ne_u32_e32 vcc_lo, 0, v2
	s_mul_hi_u32 s1, s8, 0xfffff724
	v_and_or_b32 v12, 0x8000, v13, v12
	s_mul_i32 s0, s9, 0xfffff724
	s_sub_i32 s6, s1, s8
	v_cndmask_b32_e64 v2, 0, 1, vcc_lo
	v_cmp_ne_u32_e32 vcc_lo, 0, v4
	v_mul_f64 v[0:1], v[6:7], s[4:5]
	v_sub_nc_u32_e32 v6, 0x3f1, v18
	v_and_b32_e32 v12, 0xffff, v12
	v_and_or_b32 v2, 0xffe, v16, v2
	v_cndmask_b32_e64 v4, 0, 1, vcc_lo
	v_cmp_gt_i32_e32 vcc_lo, 31, v15
	s_waitcnt lgkmcnt(0)
	v_lshrrev_b32_e32 v16, 16, v10
	v_med3_i32 v6, v6, 0, 13
	s_add_i32 s6, s6, s0
	v_lshl_or_b32 v4, v4, 9, 0x7c00
	v_cndmask_b32_e32 v7, 0x7c00, v14, vcc_lo
	v_or_b32_e32 v14, 0x1000, v2
	v_cmp_eq_u32_e32 vcc_lo, 0x40f, v15
	v_mul_f16_sdwa v19, v90, v16 dst_sel:DWORD dst_unused:UNUSED_PAD src0_sel:WORD_1 src1_sel:DWORD
	v_lshrrev_b32_e32 v3, 16, v3
	v_cndmask_b32_e32 v4, v7, v4, vcc_lo
	v_lshrrev_b32_e32 v7, v6, v14
	v_fmac_f16_e32 v19, v90, v10
	v_mul_f16_sdwa v10, v90, v10 dst_sel:DWORD dst_unused:UNUSED_PAD src0_sel:WORD_1 src1_sel:DWORD
	v_and_or_b32 v13, 0x8000, v5, v4
	v_lshlrev_b32_e32 v6, v6, v7
	v_cvt_f32_f16_e32 v4, v19
	v_and_or_b32 v0, 0x1ff, v1, v0
	v_lshrrev_b32_e32 v15, 8, v1
	v_bfe_u32 v17, v1, 20, 11
	v_cmp_ne_u32_e32 vcc_lo, v6, v14
	v_cvt_f64_f32_e32 v[4:5], v4
	v_add_nc_u32_e32 v14, 0xfffffc10, v18
	v_lshl_or_b32 v20, v13, 16, v12
	v_cndmask_b32_e64 v6, 0, 1, vcc_lo
	v_cmp_ne_u32_e32 vcc_lo, 0, v0
	v_or_b32_e32 v6, v7, v6
	v_cndmask_b32_e64 v0, 0, 1, vcc_lo
	v_lshl_or_b32 v7, v14, 12, v2
	v_cmp_gt_i32_e32 vcc_lo, 1, v14
	v_and_or_b32 v0, 0xffe, v15, v0
	v_sub_nc_u32_e32 v15, 0x3f1, v17
	v_cndmask_b32_e32 v18, v7, v6, vcc_lo
	v_add_co_u32 v6, vcc_lo, v8, s7
	v_or_b32_e32 v19, 0x1000, v0
	v_med3_i32 v15, v15, 0, 13
	v_and_b32_e32 v12, 7, v18
	v_mul_f64 v[4:5], v[4:5], s[4:5]
	v_add_co_ci_u32_e32 v7, vcc_lo, s6, v9, vcc_lo
	v_lshrrev_b32_e32 v21, v15, v19
	v_cmp_lt_i32_e32 vcc_lo, 5, v12
	v_cmp_eq_u32_e64 s0, 3, v12
	v_fma_f16 v8, v90, v16, -v10
	v_lshrrev_b32_e32 v10, 2, v18
	v_lshlrev_b32_e32 v9, v15, v21
	v_add_nc_u32_e32 v12, 0xa00, v75
	s_or_b32 vcc_lo, s0, vcc_lo
	v_cvt_f32_f16_e32 v8, v8
	v_add_co_ci_u32_e32 v10, vcc_lo, 0, v10, vcc_lo
	v_cmp_ne_u32_e64 s1, v9, v19
	v_cmp_ne_u32_e32 vcc_lo, 0, v2
	ds_read2_b32 v[12:13], v12 offset0:116 offset1:179
	v_add_nc_u32_e32 v16, 0xfffffc10, v17
	v_cvt_f64_f32_e32 v[8:9], v8
	v_cndmask_b32_e64 v15, 0, 1, s1
	v_cndmask_b32_e64 v2, 0, 1, vcc_lo
	v_cmp_gt_i32_e32 vcc_lo, 31, v14
	v_lshl_or_b32 v17, v16, 12, v0
	v_and_or_b32 v4, 0x1ff, v5, v4
	v_or_b32_e32 v15, v21, v15
	v_lshl_or_b32 v2, v2, 9, 0x7c00
	v_cndmask_b32_e32 v10, 0x7c00, v10, vcc_lo
	v_cmp_gt_i32_e32 vcc_lo, 1, v16
	global_store_dword v[6:7], v20, off
	v_cndmask_b32_e32 v15, v17, v15, vcc_lo
	v_cmp_ne_u32_e32 vcc_lo, 0, v4
	v_lshrrev_b32_e32 v17, 8, v5
	v_and_b32_e32 v18, 7, v15
	v_cndmask_b32_e64 v4, 0, 1, vcc_lo
	v_cmp_eq_u32_e32 vcc_lo, 0x40f, v14
	s_waitcnt lgkmcnt(0)
	v_lshrrev_b32_e32 v14, 16, v12
	v_mul_f64 v[8:9], v[8:9], s[4:5]
	v_cmp_eq_u32_e64 s0, 3, v18
	v_and_or_b32 v4, 0xffe, v17, v4
	v_cndmask_b32_e32 v2, v10, v2, vcc_lo
	v_bfe_u32 v10, v5, 20, 11
	v_mul_f16_sdwa v19, v89, v14 dst_sel:DWORD dst_unused:UNUSED_PAD src0_sel:WORD_1 src1_sel:DWORD
	v_cmp_lt_i32_e32 vcc_lo, 5, v18
	v_or_b32_e32 v21, 0x1000, v4
	v_and_or_b32 v18, 0x8000, v3, v2
	v_sub_nc_u32_e32 v17, 0x3f1, v10
	v_fmac_f16_e32 v19, v89, v12
	v_lshrrev_b32_e32 v2, 2, v15
	s_or_b32 vcc_lo, s0, vcc_lo
	v_add_nc_u32_e32 v10, 0xfffffc10, v10
	v_med3_i32 v17, v17, 0, 13
	v_cvt_f32_f16_e32 v3, v19
	v_add_co_ci_u32_e32 v19, vcc_lo, 0, v2, vcc_lo
	v_cmp_ne_u32_e32 vcc_lo, 0, v0
	v_lshrrev_b32_e32 v15, v17, v21
	v_cvt_f64_f32_e32 v[2:3], v3
	v_lshrrev_b32_e32 v5, 16, v5
	v_and_or_b32 v8, 0x1ff, v9, v8
	v_cndmask_b32_e64 v0, 0, 1, vcc_lo
	v_lshlrev_b32_e32 v17, v17, v15
	v_cmp_gt_i32_e32 vcc_lo, 31, v16
	v_bfe_u32 v22, v9, 20, 11
	v_lshl_or_b32 v0, v0, 9, 0x7c00
	v_cndmask_b32_e32 v19, 0x7c00, v19, vcc_lo
	v_cmp_ne_u32_e32 vcc_lo, v17, v21
	v_lshrrev_b32_e32 v21, 8, v9
	v_lshrrev_b32_e32 v9, 16, v9
	v_cndmask_b32_e64 v17, 0, 1, vcc_lo
	v_cmp_ne_u32_e32 vcc_lo, 0, v8
	v_cndmask_b32_e64 v8, 0, 1, vcc_lo
	v_cmp_eq_u32_e32 vcc_lo, 0x40f, v16
	v_and_or_b32 v8, 0xffe, v21, v8
	v_cndmask_b32_e32 v16, v19, v0, vcc_lo
	v_or_b32_e32 v0, v15, v17
	v_sub_nc_u32_e32 v17, 0x3f1, v22
	v_lshl_or_b32 v15, v10, 12, v4
	v_cmp_gt_i32_e32 vcc_lo, 1, v10
	v_lshrrev_b32_e32 v19, 16, v1
	v_or_b32_e32 v21, 0x1000, v8
	v_med3_i32 v17, v17, 0, 13
	v_cndmask_b32_e32 v15, v15, v0, vcc_lo
	v_mul_f64 v[0:1], v[2:3], s[4:5]
	v_mul_f16_sdwa v2, v89, v12 dst_sel:DWORD dst_unused:UNUSED_PAD src0_sel:WORD_1 src1_sel:DWORD
	v_and_or_b32 v3, 0x8000, v19, v16
	v_and_b32_e32 v12, 0xffff, v18
	v_lshrrev_b32_e32 v16, v17, v21
	v_and_b32_e32 v18, 7, v15
	v_fma_f16 v2, v89, v14, -v2
	v_lshrrev_b32_e32 v14, 2, v15
	v_lshl_or_b32 v12, v3, 16, v12
	v_lshlrev_b32_e32 v3, v17, v16
	v_cmp_lt_i32_e32 vcc_lo, 5, v18
	v_cmp_eq_u32_e64 s0, 3, v18
	v_cvt_f32_f16_e32 v2, v2
	v_add_nc_u32_e32 v17, 0xfffffc10, v22
	v_cmp_ne_u32_e64 s1, v3, v21
	s_or_b32 vcc_lo, s0, vcc_lo
	v_cvt_f64_f32_e32 v[2:3], v2
	v_add_co_ci_u32_e32 v14, vcc_lo, 0, v14, vcc_lo
	v_cndmask_b32_e64 v15, 0, 1, s1
	v_cmp_ne_u32_e32 vcc_lo, 0, v4
	v_and_or_b32 v0, 0x1ff, v1, v0
	v_bfe_u32 v18, v1, 20, 11
	v_or_b32_e32 v15, v16, v15
	v_lshl_or_b32 v16, v17, 12, v8
	v_cndmask_b32_e64 v4, 0, 1, vcc_lo
	v_cmp_gt_i32_e32 vcc_lo, 1, v17
	v_lshl_or_b32 v4, v4, 9, 0x7c00
	v_cndmask_b32_e32 v15, v16, v15, vcc_lo
	v_cmp_ne_u32_e32 vcc_lo, 0, v0
	v_lshrrev_b32_e32 v16, 8, v1
	v_and_b32_e32 v19, 7, v15
	v_cndmask_b32_e64 v0, 0, 1, vcc_lo
	v_cmp_gt_i32_e32 vcc_lo, 31, v10
	v_mul_f64 v[2:3], v[2:3], s[4:5]
	v_cmp_eq_u32_e64 s0, 3, v19
	v_and_or_b32 v0, 0xffe, v16, v0
	v_cndmask_b32_e32 v14, 0x7c00, v14, vcc_lo
	v_cmp_eq_u32_e32 vcc_lo, 0x40f, v10
	v_sub_nc_u32_e32 v16, 0x3f1, v18
	v_or_b32_e32 v10, 0x1000, v0
	v_cndmask_b32_e32 v4, v14, v4, vcc_lo
	v_cmp_lt_i32_e32 vcc_lo, 5, v19
	v_med3_i32 v14, v16, 0, 13
	v_and_or_b32 v16, 0x8000, v5, v4
	v_lshrrev_b32_e32 v4, 2, v15
	s_or_b32 vcc_lo, s0, vcc_lo
	v_lshrrev_b32_e32 v19, v14, v10
	v_lshrrev_b32_e32 v15, 16, v11
	v_and_b32_e32 v16, 0xffff, v16
	v_add_co_ci_u32_e32 v4, vcc_lo, 0, v4, vcc_lo
	v_cmp_ne_u32_e32 vcc_lo, 0, v8
	v_lshlrev_b32_e32 v14, v14, v19
	v_mul_f16_sdwa v5, v88, v15 dst_sel:DWORD dst_unused:UNUSED_PAD src0_sel:WORD_1 src1_sel:DWORD
	v_and_or_b32 v2, 0x1ff, v3, v2
	v_bfe_u32 v21, v3, 20, 11
	v_cndmask_b32_e64 v8, 0, 1, vcc_lo
	v_cmp_gt_i32_e32 vcc_lo, 31, v17
	v_fmac_f16_e32 v5, v88, v11
	v_mul_f16_sdwa v11, v88, v11 dst_sel:DWORD dst_unused:UNUSED_PAD src0_sel:WORD_1 src1_sel:DWORD
	v_lshl_or_b32 v8, v8, 9, 0x7c00
	v_cndmask_b32_e32 v20, 0x7c00, v4, vcc_lo
	v_cmp_ne_u32_e32 vcc_lo, v14, v10
	v_cvt_f32_f16_e32 v4, v5
	v_add_nc_u32_e32 v14, 0xfffffc10, v18
	v_lshrrev_b32_e32 v18, 8, v3
	v_cndmask_b32_e64 v10, 0, 1, vcc_lo
	v_cmp_ne_u32_e32 vcc_lo, 0, v2
	v_cvt_f64_f32_e32 v[4:5], v4
	v_or_b32_e32 v10, v19, v10
	v_cndmask_b32_e64 v2, 0, 1, vcc_lo
	v_cmp_eq_u32_e32 vcc_lo, 0x40f, v17
	v_lshl_or_b32 v17, v14, 12, v0
	v_and_or_b32 v2, 0xffe, v18, v2
	v_cndmask_b32_e32 v8, v20, v8, vcc_lo
	v_sub_nc_u32_e32 v18, 0x3f1, v21
	v_cmp_gt_i32_e32 vcc_lo, 1, v14
	v_and_or_b32 v8, 0x8000, v9, v8
	v_med3_i32 v18, v18, 0, 13
	v_cndmask_b32_e32 v10, v17, v10, vcc_lo
	v_or_b32_e32 v17, 0x1000, v2
	v_add_co_u32 v6, vcc_lo, v6, s3
	v_add_co_ci_u32_e32 v7, vcc_lo, s2, v7, vcc_lo
	v_lshrrev_b32_e32 v9, v18, v17
	v_and_b32_e32 v19, 7, v10
	v_mul_f64 v[4:5], v[4:5], s[4:5]
	v_lshl_or_b32 v16, v8, 16, v16
	v_fma_f16 v8, v88, v15, -v11
	v_lshlrev_b32_e32 v18, v18, v9
	v_cmp_lt_i32_e32 vcc_lo, 5, v19
	v_lshrrev_b32_e32 v10, 2, v10
	global_store_dword v[6:7], v12, off
	v_cvt_f32_f16_e32 v8, v8
	v_cmp_ne_u32_e64 s0, v18, v17
	v_add_nc_u32_e32 v12, 0xfffffc10, v21
	v_cndmask_b32_e64 v11, 0, 1, s0
	v_cmp_eq_u32_e64 s0, 3, v19
	v_lshl_or_b32 v15, v12, 12, v2
	v_or_b32_e32 v11, v9, v11
	s_or_b32 vcc_lo, s0, vcc_lo
	v_cvt_f64_f32_e32 v[8:9], v8
	v_add_co_ci_u32_e32 v10, vcc_lo, 0, v10, vcc_lo
	v_cmp_ne_u32_e32 vcc_lo, 0, v0
	v_and_or_b32 v4, 0x1ff, v5, v4
	v_lshrrev_b32_e32 v17, 8, v5
	v_bfe_u32 v18, v5, 20, 11
	v_lshrrev_b32_e32 v5, 16, v5
	v_cndmask_b32_e64 v0, 0, 1, vcc_lo
	v_cmp_gt_i32_e32 vcc_lo, 1, v12
	v_lshl_or_b32 v0, v0, 9, 0x7c00
	v_cndmask_b32_e32 v11, v15, v11, vcc_lo
	v_cmp_gt_i32_e32 vcc_lo, 31, v14
	v_and_b32_e32 v15, 7, v11
	v_cndmask_b32_e32 v10, 0x7c00, v10, vcc_lo
	v_cmp_ne_u32_e32 vcc_lo, 0, v4
	v_cmp_eq_u32_e64 s0, 3, v15
	v_cndmask_b32_e64 v4, 0, 1, vcc_lo
	v_cmp_eq_u32_e32 vcc_lo, 0x40f, v14
	v_lshrrev_b32_e32 v14, 16, v1
	v_and_or_b32 v4, 0xffe, v17, v4
	v_cndmask_b32_e32 v10, v10, v0, vcc_lo
	v_cmp_lt_i32_e32 vcc_lo, 5, v15
	v_mul_f64 v[0:1], v[8:9], s[4:5]
	v_lshrrev_b32_e32 v8, 2, v11
	v_sub_nc_u32_e32 v17, 0x3f1, v18
	v_or_b32_e32 v9, 0x1000, v4
	s_or_b32 vcc_lo, s0, vcc_lo
	v_lshrrev_b32_e32 v15, 16, v13
	v_add_co_ci_u32_e32 v8, vcc_lo, 0, v8, vcc_lo
	v_med3_i32 v11, v17, 0, 13
	v_cmp_ne_u32_e32 vcc_lo, 0, v2
	v_mul_f16_sdwa v19, v87, v15 dst_sel:DWORD dst_unused:UNUSED_PAD src0_sel:WORD_1 src1_sel:DWORD
	v_and_or_b32 v10, 0x8000, v14, v10
	v_add_nc_u32_e32 v14, 0xfffffc10, v18
	v_lshrrev_b32_e32 v17, v11, v9
	v_cndmask_b32_e64 v2, 0, 1, vcc_lo
	v_cmp_gt_i32_e32 vcc_lo, 31, v12
	v_fmac_f16_e32 v19, v87, v13
	v_and_b32_e32 v10, 0xffff, v10
	v_lshlrev_b32_e32 v11, v11, v17
	v_lshl_or_b32 v2, v2, 9, 0x7c00
	v_cndmask_b32_e32 v8, 0x7c00, v8, vcc_lo
	v_cmp_eq_u32_e32 vcc_lo, 0x40f, v12
	v_and_or_b32 v0, 0x1ff, v1, v0
	v_lshrrev_b32_e32 v12, 16, v3
	v_bfe_u32 v18, v1, 20, 11
	v_mul_f16_sdwa v13, v87, v13 dst_sel:DWORD dst_unused:UNUSED_PAD src0_sel:WORD_1 src1_sel:DWORD
	v_cndmask_b32_e32 v8, v8, v2, vcc_lo
	v_cmp_ne_u32_e32 vcc_lo, v11, v9
	v_cvt_f32_f16_e32 v2, v19
	v_lshrrev_b32_e32 v11, 8, v1
	v_and_or_b32 v8, 0x8000, v12, v8
	v_cndmask_b32_e64 v9, 0, 1, vcc_lo
	v_cmp_ne_u32_e32 vcc_lo, 0, v0
	v_cvt_f64_f32_e32 v[2:3], v2
	v_lshl_or_b32 v12, v14, 12, v4
	v_lshl_or_b32 v19, v8, 16, v10
	v_or_b32_e32 v9, v17, v9
	v_cndmask_b32_e64 v0, 0, 1, vcc_lo
	v_cmp_gt_i32_e32 vcc_lo, 1, v14
	v_and_or_b32 v0, 0xffe, v11, v0
	v_sub_nc_u32_e32 v11, 0x3f1, v18
	v_cndmask_b32_e32 v12, v12, v9, vcc_lo
	v_add_co_u32 v6, vcc_lo, v6, s7
	v_or_b32_e32 v17, 0x1000, v0
	v_med3_i32 v11, v11, 0, 13
	v_add_co_ci_u32_e32 v7, vcc_lo, s6, v7, vcc_lo
	v_and_b32_e32 v10, 7, v12
	v_add_co_u32 v8, vcc_lo, v6, s3
	v_lshrrev_b32_e32 v20, v11, v17
	v_mul_f64 v[2:3], v[2:3], s[4:5]
	v_add_co_ci_u32_e32 v9, vcc_lo, s2, v7, vcc_lo
	v_cmp_lt_i32_e32 vcc_lo, 5, v10
	v_lshlrev_b32_e32 v11, v11, v20
	v_cmp_eq_u32_e64 s0, 3, v10
	v_fma_f16 v10, v87, v15, -v13
	v_lshrrev_b32_e32 v12, 2, v12
	v_add_nc_u32_e32 v15, 0xfffffc10, v18
	v_cmp_ne_u32_e64 s1, v11, v17
	s_or_b32 vcc_lo, s0, vcc_lo
	v_cvt_f32_f16_e32 v10, v10
	v_add_co_ci_u32_e32 v12, vcc_lo, 0, v12, vcc_lo
	v_cndmask_b32_e64 v11, 0, 1, s1
	v_cmp_ne_u32_e32 vcc_lo, 0, v4
	v_lshl_or_b32 v17, v15, 12, v0
	v_or_b32_e32 v13, v20, v11
	v_cvt_f64_f32_e32 v[10:11], v10
	v_cndmask_b32_e64 v4, 0, 1, vcc_lo
	v_cmp_gt_i32_e32 vcc_lo, 1, v15
	v_and_or_b32 v2, 0x1ff, v3, v2
	v_lshrrev_b32_e32 v21, 8, v3
	v_bfe_u32 v22, v3, 20, 11
	v_lshl_or_b32 v4, v4, 9, 0x7c00
	v_cndmask_b32_e32 v17, v17, v13, vcc_lo
	v_add_nc_u32_e32 v13, 0x200, v75
	v_cmp_gt_i32_e32 vcc_lo, 31, v14
	v_and_b32_e32 v20, 7, v17
	v_lshrrev_b32_e32 v17, 2, v17
	v_cndmask_b32_e32 v18, 0x7c00, v12, vcc_lo
	ds_read2_b32 v[12:13], v13 offset0:124 offset1:187
	v_cmp_ne_u32_e32 vcc_lo, 0, v2
	v_cmp_eq_u32_e64 s0, 3, v20
	global_store_dword v[6:7], v16, off
	global_store_dword v[8:9], v19, off
	v_cndmask_b32_e64 v2, 0, 1, vcc_lo
	v_cmp_eq_u32_e32 vcc_lo, 0x40f, v14
	v_mul_f64 v[10:11], v[10:11], s[4:5]
	v_sub_nc_u32_e32 v14, 0x3f1, v22
	v_and_or_b32 v2, 0xffe, v21, v2
	v_cndmask_b32_e32 v4, v18, v4, vcc_lo
	v_cmp_lt_i32_e32 vcc_lo, 5, v20
	v_med3_i32 v14, v14, 0, 13
	v_or_b32_e32 v18, 0x1000, v2
	v_and_or_b32 v4, 0x8000, v5, v4
	s_or_b32 vcc_lo, s0, vcc_lo
	v_add_co_ci_u32_e32 v17, vcc_lo, 0, v17, vcc_lo
	v_cmp_ne_u32_e32 vcc_lo, 0, v0
	s_waitcnt lgkmcnt(0)
	v_lshrrev_b32_e32 v20, 16, v12
	v_lshrrev_b32_e32 v21, v14, v18
	v_and_b32_e32 v4, 0xffff, v4
	v_cndmask_b32_e64 v0, 0, 1, vcc_lo
	v_cmp_gt_i32_e32 vcc_lo, 31, v15
	v_mul_f16_sdwa v23, v86, v20 dst_sel:DWORD dst_unused:UNUSED_PAD src0_sel:WORD_1 src1_sel:DWORD
	v_lshlrev_b32_e32 v5, v14, v21
	v_lshl_or_b32 v0, v0, 9, 0x7c00
	v_cndmask_b32_e32 v17, 0x7c00, v17, vcc_lo
	v_cmp_eq_u32_e32 vcc_lo, 0x40f, v15
	v_fmac_f16_e32 v23, v86, v12
	v_lshrrev_b32_e32 v15, 16, v1
	v_cndmask_b32_e32 v14, v17, v0, vcc_lo
	v_and_or_b32 v0, 0x1ff, v11, v10
	v_cmp_ne_u32_e32 vcc_lo, v5, v18
	v_cvt_f32_f16_e32 v1, v23
	v_add_nc_u32_e32 v10, 0xfffffc10, v22
	v_lshrrev_b32_e32 v18, 8, v11
	v_bfe_u32 v22, v11, 20, 11
	v_cndmask_b32_e64 v5, 0, 1, vcc_lo
	v_cmp_ne_u32_e32 vcc_lo, 0, v0
	v_cvt_f64_f32_e32 v[0:1], v1
	v_and_or_b32 v14, 0x8000, v15, v14
	v_lshl_or_b32 v15, v10, 12, v2
	v_or_b32_e32 v5, v21, v5
	v_cndmask_b32_e64 v17, 0, 1, vcc_lo
	v_cmp_gt_i32_e32 vcc_lo, 1, v10
	v_lshl_or_b32 v14, v14, 16, v4
	v_lshrrev_b32_e32 v11, 16, v11
	v_and_or_b32 v17, 0xffe, v18, v17
	v_sub_nc_u32_e32 v18, 0x3f1, v22
	v_cndmask_b32_e32 v15, v15, v5, vcc_lo
	v_add_co_u32 v4, vcc_lo, v8, s7
	v_or_b32_e32 v21, 0x1000, v17
	v_med3_i32 v18, v18, 0, 13
	v_and_b32_e32 v6, 7, v15
	v_add_co_ci_u32_e32 v5, vcc_lo, s6, v9, vcc_lo
	v_mul_f16_sdwa v8, v86, v12 dst_sel:DWORD dst_unused:UNUSED_PAD src0_sel:WORD_1 src1_sel:DWORD
	v_lshrrev_b32_e32 v7, v18, v21
	v_cmp_lt_i32_e32 vcc_lo, 5, v6
	v_mul_f64 v[0:1], v[0:1], s[4:5]
	v_cmp_eq_u32_e64 s0, 3, v6
	v_fma_f16 v6, v86, v20, -v8
	v_lshlrev_b32_e32 v9, v18, v7
	v_lshrrev_b32_e32 v8, 2, v15
	v_add_nc_u32_e32 v12, 0xfffffc10, v22
	s_or_b32 vcc_lo, s0, vcc_lo
	v_cvt_f32_f16_e32 v6, v6
	v_cmp_ne_u32_e64 s1, v9, v21
	v_add_co_ci_u32_e32 v16, vcc_lo, 0, v8, vcc_lo
	v_cmp_ne_u32_e32 vcc_lo, 0, v2
	v_add_nc_u32_e32 v15, 0xc00, v75
	v_cndmask_b32_e64 v9, 0, 1, s1
	v_lshl_or_b32 v19, v12, 12, v17
	global_store_dword v[4:5], v14, off
	v_cndmask_b32_e64 v2, 0, 1, vcc_lo
	v_cmp_gt_i32_e32 vcc_lo, 1, v12
	v_or_b32_e32 v18, v7, v9
	v_cvt_f64_f32_e32 v[6:7], v6
	ds_read2_b32 v[8:9], v15 offset0:114 offset1:177
	v_lshl_or_b32 v2, v2, 9, 0x7c00
	v_and_or_b32 v0, 0x1ff, v1, v0
	v_cndmask_b32_e32 v15, v19, v18, vcc_lo
	v_cmp_gt_i32_e32 vcc_lo, 31, v10
	v_lshrrev_b32_e32 v19, 8, v1
	v_bfe_u32 v20, v1, 20, 11
	v_and_b32_e32 v18, 7, v15
	v_cndmask_b32_e32 v16, 0x7c00, v16, vcc_lo
	v_cmp_ne_u32_e32 vcc_lo, 0, v0
	v_cmp_eq_u32_e64 s0, 3, v18
	v_cndmask_b32_e64 v0, 0, 1, vcc_lo
	v_cmp_eq_u32_e32 vcc_lo, 0x40f, v10
	v_and_or_b32 v0, 0xffe, v19, v0
	v_cndmask_b32_e32 v10, v16, v2, vcc_lo
	v_cmp_lt_i32_e32 vcc_lo, 5, v18
	v_lshrrev_b32_e32 v16, 16, v3
	v_mul_f64 v[2:3], v[6:7], s[4:5]
	v_lshrrev_b32_e32 v6, 2, v15
	v_sub_nc_u32_e32 v19, 0x3f1, v20
	s_waitcnt lgkmcnt(0)
	v_lshrrev_b32_e32 v21, 16, v8
	s_or_b32 vcc_lo, s0, vcc_lo
	v_or_b32_e32 v15, 0x1000, v0
	v_add_co_ci_u32_e32 v6, vcc_lo, 0, v6, vcc_lo
	v_med3_i32 v7, v19, 0, 13
	v_mul_f16_sdwa v18, v85, v21 dst_sel:DWORD dst_unused:UNUSED_PAD src0_sel:WORD_1 src1_sel:DWORD
	v_cmp_ne_u32_e32 vcc_lo, 0, v17
	v_and_or_b32 v10, 0x8000, v16, v10
	v_lshrrev_b32_e32 v19, v7, v15
	v_fmac_f16_e32 v18, v85, v8
	v_cndmask_b32_e64 v17, 0, 1, vcc_lo
	v_cmp_gt_i32_e32 vcc_lo, 31, v12
	v_and_b32_e32 v10, 0xffff, v10
	v_mul_f16_sdwa v8, v85, v8 dst_sel:DWORD dst_unused:UNUSED_PAD src0_sel:WORD_1 src1_sel:DWORD
	v_cvt_f32_f16_e32 v16, v18
	v_lshl_or_b32 v17, v17, 9, 0x7c00
	v_cndmask_b32_e32 v6, 0x7c00, v6, vcc_lo
	v_lshlrev_b32_e32 v18, v7, v19
	v_cmp_eq_u32_e32 vcc_lo, 0x40f, v12
	v_and_or_b32 v2, 0x1ff, v3, v2
	v_fma_f16 v8, v85, v21, -v8
	v_cndmask_b32_e32 v12, v6, v17, vcc_lo
	v_cmp_ne_u32_e32 vcc_lo, v18, v15
	v_cvt_f64_f32_e32 v[6:7], v16
	v_add_nc_u32_e32 v16, 0xfffffc10, v20
	v_lshrrev_b32_e32 v17, 8, v3
	v_bfe_u32 v18, v3, 20, 11
	v_cndmask_b32_e64 v15, 0, 1, vcc_lo
	v_cmp_ne_u32_e32 vcc_lo, 0, v2
	v_and_or_b32 v11, 0x8000, v11, v12
	v_cvt_f32_f16_e32 v8, v8
	v_lshrrev_b32_e32 v3, 16, v3
	v_or_b32_e32 v12, v19, v15
	v_cndmask_b32_e64 v2, 0, 1, vcc_lo
	v_lshl_or_b32 v15, v16, 12, v0
	v_cmp_gt_i32_e32 vcc_lo, 1, v16
	v_lshl_or_b32 v14, v11, 16, v10
	v_and_or_b32 v2, 0xffe, v17, v2
	v_sub_nc_u32_e32 v17, 0x3f1, v18
	v_cndmask_b32_e32 v12, v15, v12, vcc_lo
	v_add_co_u32 v4, vcc_lo, v4, s3
	v_or_b32_e32 v15, 0x1000, v2
	v_med3_i32 v17, v17, 0, 13
	v_mul_f64 v[6:7], v[6:7], s[4:5]
	v_and_b32_e32 v10, 7, v12
	v_add_co_ci_u32_e32 v5, vcc_lo, s2, v5, vcc_lo
	v_lshrrev_b32_e32 v11, v17, v15
	v_cmp_lt_i32_e32 vcc_lo, 5, v10
	v_cmp_eq_u32_e64 s0, 3, v10
	v_lshrrev_b32_e32 v10, 2, v12
	v_lshlrev_b32_e32 v17, v17, v11
	global_store_dword v[4:5], v14, off
	s_or_b32 vcc_lo, s0, vcc_lo
	v_cmp_ne_u32_e64 s1, v17, v15
	v_add_co_ci_u32_e32 v17, vcc_lo, 0, v10, vcc_lo
	v_add_nc_u32_e32 v15, 0xfffffc10, v18
	v_cmp_ne_u32_e32 vcc_lo, 0, v0
	v_cndmask_b32_e64 v12, 0, 1, s1
	v_add_co_u32 v4, s1, v4, s7
	v_and_or_b32 v6, 0x1ff, v7, v6
	v_cndmask_b32_e64 v0, 0, 1, vcc_lo
	v_or_b32_e32 v12, v11, v12
	v_cvt_f64_f32_e32 v[10:11], v8
	v_lshl_or_b32 v8, v15, 12, v2
	v_cmp_gt_i32_e32 vcc_lo, 1, v15
	v_bfe_u32 v18, v7, 20, 11
	v_lshl_or_b32 v0, v0, 9, 0x7c00
	v_add_co_ci_u32_e64 v5, s1, s6, v5, s1
	v_cndmask_b32_e32 v8, v8, v12, vcc_lo
	v_cmp_ne_u32_e32 vcc_lo, 0, v6
	v_lshrrev_b32_e32 v12, 8, v7
	v_and_b32_e32 v19, 7, v8
	v_cndmask_b32_e64 v6, 0, 1, vcc_lo
	v_cmp_gt_i32_e32 vcc_lo, 31, v16
	v_lshrrev_b32_e32 v8, 2, v8
	v_cmp_eq_u32_e64 s0, 3, v19
	v_and_or_b32 v6, 0xffe, v12, v6
	v_cndmask_b32_e32 v17, 0x7c00, v17, vcc_lo
	v_cmp_eq_u32_e32 vcc_lo, 0x40f, v16
	v_sub_nc_u32_e32 v16, 0x3f1, v18
	v_add_nc_u32_e32 v18, 0xfffffc10, v18
	v_or_b32_e32 v20, 0x1000, v6
	v_cndmask_b32_e32 v12, v17, v0, vcc_lo
	v_cmp_lt_i32_e32 vcc_lo, 5, v19
	v_lshrrev_b32_e32 v17, 16, v1
	v_mul_f64 v[0:1], v[10:11], s[4:5]
	v_med3_i32 v10, v16, 0, 13
	v_lshrrev_b32_e32 v16, 16, v13
	s_or_b32 vcc_lo, s0, vcc_lo
	v_and_or_b32 v12, 0x8000, v17, v12
	v_add_co_ci_u32_e32 v8, vcc_lo, 0, v8, vcc_lo
	v_lshrrev_b32_e32 v17, v10, v20
	v_cmp_ne_u32_e32 vcc_lo, 0, v2
	v_mul_f16_sdwa v11, v84, v16 dst_sel:DWORD dst_unused:UNUSED_PAD src0_sel:WORD_1 src1_sel:DWORD
	v_and_b32_e32 v12, 0xffff, v12
	v_lshlrev_b32_e32 v10, v10, v17
	v_cndmask_b32_e64 v2, 0, 1, vcc_lo
	v_cmp_gt_i32_e32 vcc_lo, 31, v15
	v_fmac_f16_e32 v11, v84, v13
	v_lshl_or_b32 v2, v2, 9, 0x7c00
	v_cndmask_b32_e32 v8, 0x7c00, v8, vcc_lo
	v_cmp_ne_u32_e32 vcc_lo, v10, v20
	v_cvt_f32_f16_e32 v11, v11
	v_and_or_b32 v0, 0x1ff, v1, v0
	v_cndmask_b32_e64 v19, 0, 1, vcc_lo
	v_cmp_eq_u32_e32 vcc_lo, 0x40f, v15
	v_cvt_f64_f32_e32 v[10:11], v11
	v_lshl_or_b32 v15, v18, 12, v6
	v_cndmask_b32_e32 v2, v8, v2, vcc_lo
	v_cmp_ne_u32_e32 vcc_lo, 0, v0
	v_or_b32_e32 v8, v17, v19
	v_lshrrev_b32_e32 v17, 8, v1
	v_bfe_u32 v19, v1, 20, 11
	v_and_or_b32 v2, 0x8000, v3, v2
	v_cndmask_b32_e64 v0, 0, 1, vcc_lo
	v_cmp_gt_i32_e32 vcc_lo, 1, v18
	v_lshrrev_b32_e32 v1, 16, v1
	v_sub_nc_u32_e32 v3, 0x3f1, v19
	v_lshl_or_b32 v12, v2, 16, v12
	v_and_or_b32 v0, 0xffe, v17, v0
	v_cndmask_b32_e32 v8, v15, v8, vcc_lo
	v_med3_i32 v17, v3, 0, 13
	global_store_dword v[4:5], v12, off
	v_or_b32_e32 v14, 0x1000, v0
	v_and_b32_e32 v15, 7, v8
	v_mul_f64 v[2:3], v[10:11], s[4:5]
	v_lshrrev_b32_e32 v8, 2, v8
	v_mul_f16_sdwa v10, v84, v13 dst_sel:DWORD dst_unused:UNUSED_PAD src0_sel:WORD_1 src1_sel:DWORD
	v_add_co_u32 v4, s1, v4, s3
	v_cmp_lt_i32_e32 vcc_lo, 5, v15
	v_cmp_eq_u32_e64 s0, 3, v15
	v_lshrrev_b32_e32 v15, v17, v14
	v_fma_f16 v10, v84, v16, -v10
	v_add_co_ci_u32_e64 v5, s1, s2, v5, s1
	s_or_b32 vcc_lo, s0, vcc_lo
	v_lshlrev_b32_e32 v11, v17, v15
	v_add_co_ci_u32_e32 v8, vcc_lo, 0, v8, vcc_lo
	v_cvt_f32_f16_e32 v10, v10
	v_cmp_ne_u32_e32 vcc_lo, v11, v14
	v_add_nc_u32_e32 v14, 0xfffffc10, v19
	v_lshrrev_b32_e32 v19, 16, v9
	v_cvt_f64_f32_e32 v[10:11], v10
	v_cndmask_b32_e64 v13, 0, 1, vcc_lo
	v_cmp_ne_u32_e32 vcc_lo, 0, v6
	v_and_or_b32 v2, 0x1ff, v3, v2
	v_bfe_u32 v16, v3, 20, 11
	v_or_b32_e32 v13, v15, v13
	v_cndmask_b32_e64 v6, 0, 1, vcc_lo
	v_cmp_gt_i32_e32 vcc_lo, 31, v18
	v_lshl_or_b32 v15, v14, 12, v0
	v_lshl_or_b32 v6, v6, 9, 0x7c00
	v_cndmask_b32_e32 v8, 0x7c00, v8, vcc_lo
	v_cmp_gt_i32_e32 vcc_lo, 1, v14
	v_cndmask_b32_e32 v13, v15, v13, vcc_lo
	v_cmp_ne_u32_e32 vcc_lo, 0, v2
	v_lshrrev_b32_e32 v15, 8, v3
	v_and_b32_e32 v17, 7, v13
	v_cndmask_b32_e64 v2, 0, 1, vcc_lo
	v_cmp_eq_u32_e32 vcc_lo, 0x40f, v18
	v_sub_nc_u32_e32 v18, 0x3f1, v16
	v_lshrrev_b32_e32 v13, 2, v13
	v_cmp_eq_u32_e64 s0, 3, v17
	v_and_or_b32 v2, 0xffe, v15, v2
	v_cndmask_b32_e32 v8, v8, v6, vcc_lo
	v_cmp_lt_i32_e32 vcc_lo, 5, v17
	v_lshrrev_b32_e32 v15, 16, v7
	v_mul_f64 v[6:7], v[10:11], s[4:5]
	v_mul_f16_sdwa v11, v83, v19 dst_sel:DWORD dst_unused:UNUSED_PAD src0_sel:WORD_1 src1_sel:DWORD
	v_or_b32_e32 v20, 0x1000, v2
	v_med3_i32 v10, v18, 0, 13
	s_or_b32 vcc_lo, s0, vcc_lo
	v_and_or_b32 v8, 0x8000, v15, v8
	v_fmac_f16_e32 v11, v83, v9
	v_add_co_ci_u32_e32 v13, vcc_lo, 0, v13, vcc_lo
	v_lshrrev_b32_e32 v15, v10, v20
	v_cmp_ne_u32_e32 vcc_lo, 0, v0
	v_cvt_f32_f16_e32 v11, v11
	v_add_nc_u32_e32 v16, 0xfffffc10, v16
	v_and_b32_e32 v8, 0xffff, v8
	v_lshlrev_b32_e32 v17, v10, v15
	v_cndmask_b32_e64 v0, 0, 1, vcc_lo
	v_cmp_gt_i32_e32 vcc_lo, 31, v14
	v_cvt_f64_f32_e32 v[10:11], v11
	v_lshl_or_b32 v0, v0, 9, 0x7c00
	v_cndmask_b32_e32 v13, 0x7c00, v13, vcc_lo
	v_cmp_ne_u32_e32 vcc_lo, v17, v20
	v_and_or_b32 v6, 0x1ff, v7, v6
	v_cndmask_b32_e64 v17, 0, 1, vcc_lo
	v_cmp_eq_u32_e32 vcc_lo, 0x40f, v14
	v_lshl_or_b32 v14, v16, 12, v2
	v_cndmask_b32_e32 v0, v13, v0, vcc_lo
	v_cmp_ne_u32_e32 vcc_lo, 0, v6
	v_or_b32_e32 v13, v15, v17
	v_lshrrev_b32_e32 v15, 8, v7
	v_bfe_u32 v17, v7, 20, 11
	v_lshrrev_b32_e32 v7, 16, v7
	v_cndmask_b32_e64 v6, 0, 1, vcc_lo
	v_cmp_gt_i32_e32 vcc_lo, 1, v16
	v_and_or_b32 v6, 0xffe, v15, v6
	v_and_or_b32 v15, 0x8000, v1, v0
	v_mul_f64 v[0:1], v[10:11], s[4:5]
	v_cndmask_b32_e32 v13, v14, v13, vcc_lo
	v_sub_nc_u32_e32 v14, 0x3f1, v17
	v_or_b32_e32 v20, 0x1000, v6
	v_lshl_or_b32 v21, v15, 16, v8
	v_mul_f16_sdwa v8, v83, v9 dst_sel:DWORD dst_unused:UNUSED_PAD src0_sel:WORD_1 src1_sel:DWORD
	v_and_b32_e32 v18, 7, v13
	v_med3_i32 v14, v14, 0, 13
	v_lshrrev_b32_e32 v9, 2, v13
	global_store_dword v[4:5], v21, off
	v_fma_f16 v8, v83, v19, -v8
	v_cmp_lt_i32_e32 vcc_lo, 5, v18
	v_lshrrev_b32_e32 v10, v14, v20
	v_cmp_eq_u32_e64 s0, 3, v18
	v_cvt_f32_f16_e32 v13, v8
	v_lshlrev_b32_e32 v11, v14, v10
	s_or_b32 vcc_lo, s0, vcc_lo
	v_add_nc_u32_e32 v14, 0xfffffc10, v17
	v_add_co_ci_u32_e32 v12, vcc_lo, 0, v9, vcc_lo
	v_cmp_ne_u32_e32 vcc_lo, v11, v20
	v_and_or_b32 v0, 0x1ff, v1, v0
	v_add_nc_u32_e32 v9, 0x400, v75
	v_lshrrev_b32_e32 v17, 8, v1
	v_bfe_u32 v18, v1, 20, 11
	v_cndmask_b32_e64 v11, 0, 1, vcc_lo
	v_cmp_ne_u32_e32 vcc_lo, 0, v0
	ds_read2_b32 v[8:9], v9 offset0:122 offset1:185
	v_or_b32_e32 v15, v10, v11
	v_cndmask_b32_e64 v0, 0, 1, vcc_lo
	v_cmp_ne_u32_e32 vcc_lo, 0, v2
	v_cvt_f64_f32_e32 v[10:11], v13
	v_lshl_or_b32 v13, v14, 12, v6
	v_and_or_b32 v0, 0xffe, v17, v0
	v_cndmask_b32_e64 v2, 0, 1, vcc_lo
	v_cmp_gt_i32_e32 vcc_lo, 1, v14
	v_or_b32_e32 v19, 0x1000, v0
	v_lshl_or_b32 v2, v2, 9, 0x7c00
	v_cndmask_b32_e32 v13, v13, v15, vcc_lo
	v_cmp_gt_i32_e32 vcc_lo, 31, v16
	v_sub_nc_u32_e32 v15, 0x3f1, v18
	v_add_nc_u32_e32 v18, 0xfffffc10, v18
	s_waitcnt lgkmcnt(0)
	v_lshrrev_b32_e32 v20, 16, v8
	v_and_b32_e32 v17, 7, v13
	v_cndmask_b32_e32 v12, 0x7c00, v12, vcc_lo
	v_cmp_eq_u32_e32 vcc_lo, 0x40f, v16
	v_med3_i32 v15, v15, 0, 13
	v_cmp_eq_u32_e64 s0, 3, v17
	v_cndmask_b32_e32 v12, v12, v2, vcc_lo
	v_cmp_lt_i32_e32 vcc_lo, 5, v17
	v_lshrrev_b32_e32 v16, v15, v19
	v_lshrrev_b32_e32 v17, 16, v3
	;; [unrolled: 1-line block ×3, first 2 shown]
	v_mul_f64 v[10:11], v[10:11], s[4:5]
	s_or_b32 vcc_lo, s0, vcc_lo
	v_lshlrev_b32_e32 v13, v15, v16
	v_mul_f16_sdwa v2, v82, v20 dst_sel:DWORD dst_unused:UNUSED_PAD src0_sel:WORD_1 src1_sel:DWORD
	v_add_co_ci_u32_e32 v15, vcc_lo, 0, v3, vcc_lo
	v_cmp_ne_u32_e32 vcc_lo, 0, v6
	v_and_or_b32 v12, 0x8000, v17, v12
	v_fmac_f16_e32 v2, v82, v8
	v_mul_f16_sdwa v8, v82, v8 dst_sel:DWORD dst_unused:UNUSED_PAD src0_sel:WORD_1 src1_sel:DWORD
	v_cndmask_b32_e64 v6, 0, 1, vcc_lo
	v_cmp_ne_u32_e32 vcc_lo, v13, v19
	v_cvt_f32_f16_e32 v2, v2
	v_fma_f16 v8, v82, v20, -v8
	v_and_b32_e32 v12, 0xffff, v12
	v_lshl_or_b32 v6, v6, 9, 0x7c00
	v_cndmask_b32_e64 v13, 0, 1, vcc_lo
	v_cmp_gt_i32_e32 vcc_lo, 31, v14
	v_cvt_f64_f32_e32 v[2:3], v2
	v_cvt_f32_f16_e32 v8, v8
	v_or_b32_e32 v13, v16, v13
	v_cndmask_b32_e32 v15, 0x7c00, v15, vcc_lo
	v_cmp_eq_u32_e32 vcc_lo, 0x40f, v14
	v_lshl_or_b32 v16, v18, 12, v0
	v_and_or_b32 v10, 0x1ff, v11, v10
	v_lshrrev_b32_e32 v14, 8, v11
	v_cndmask_b32_e32 v6, v15, v6, vcc_lo
	v_cmp_gt_i32_e32 vcc_lo, 1, v18
	v_bfe_u32 v15, v11, 20, 11
	v_and_or_b32 v6, 0x8000, v7, v6
	v_cndmask_b32_e32 v13, v16, v13, vcc_lo
	v_cmp_ne_u32_e32 vcc_lo, 0, v10
	v_sub_nc_u32_e32 v7, 0x3f1, v15
	v_lshl_or_b32 v19, v6, 16, v12
	v_and_b32_e32 v16, 7, v13
	v_cndmask_b32_e64 v10, 0, 1, vcc_lo
	v_mul_f64 v[2:3], v[2:3], s[4:5]
	v_med3_i32 v7, v7, 0, 13
	v_lshrrev_b32_e32 v13, 2, v13
	v_cmp_lt_i32_e32 vcc_lo, 5, v16
	v_and_or_b32 v10, 0xffe, v14, v10
	v_cmp_eq_u32_e64 s0, 3, v16
	v_or_b32_e32 v14, 0x1000, v10
	s_or_b32 vcc_lo, s0, vcc_lo
	v_add_co_ci_u32_e32 v13, vcc_lo, 0, v13, vcc_lo
	v_lshrrev_b32_e32 v16, v7, v14
	v_cmp_gt_i32_e32 vcc_lo, 31, v18
	v_lshlrev_b32_e32 v17, v7, v16
	v_cndmask_b32_e32 v20, 0x7c00, v13, vcc_lo
	v_cvt_f64_f32_e32 v[6:7], v8
	v_and_or_b32 v2, 0x1ff, v3, v2
	v_lshrrev_b32_e32 v13, 8, v3
	v_cmp_ne_u32_e32 vcc_lo, v17, v14
	v_add_nc_u32_e32 v17, 0xfffffc10, v15
	v_bfe_u32 v14, v3, 20, 11
	v_lshrrev_b32_e32 v3, 16, v3
	v_cndmask_b32_e64 v8, 0, 1, vcc_lo
	v_cmp_ne_u32_e32 vcc_lo, 0, v0
	v_lshl_or_b32 v12, v17, 12, v10
	v_sub_nc_u32_e32 v15, 0x3f1, v14
	v_or_b32_e32 v8, v16, v8
	v_cndmask_b32_e64 v0, 0, 1, vcc_lo
	v_cmp_ne_u32_e32 vcc_lo, 0, v2
	v_med3_i32 v15, v15, 0, 13
	v_lshl_or_b32 v0, v0, 9, 0x7c00
	v_cndmask_b32_e64 v2, 0, 1, vcc_lo
	v_cmp_gt_i32_e32 vcc_lo, 1, v17
	v_mul_f64 v[6:7], v[6:7], s[4:5]
	v_and_or_b32 v2, 0xffe, v13, v2
	v_cndmask_b32_e32 v8, v12, v8, vcc_lo
	v_add_nc_u32_e32 v12, 0xe00, v75
	v_cmp_eq_u32_e32 vcc_lo, 0x40f, v18
	v_or_b32_e32 v22, 0x1000, v2
	v_and_b32_e32 v16, 7, v8
	ds_read2_b32 v[12:13], v12 offset0:112 offset1:175
	v_cndmask_b32_e32 v18, v20, v0, vcc_lo
	v_lshrrev_b32_e32 v8, 2, v8
	v_lshrrev_b32_e32 v20, 16, v1
	v_cmp_lt_i32_e32 vcc_lo, 5, v16
	v_cmp_eq_u32_e64 s0, 3, v16
	v_lshrrev_b32_e32 v16, v15, v22
	v_add_co_u32 v0, s1, v4, s7
	v_and_or_b32 v18, 0x8000, v20, v18
	s_or_b32 vcc_lo, s0, vcc_lo
	v_lshlrev_b32_e32 v15, v15, v16
	v_add_co_ci_u32_e32 v8, vcc_lo, 0, v8, vcc_lo
	v_and_or_b32 v6, 0x1ff, v7, v6
	v_lshrrev_b32_e32 v23, 8, v7
	v_cmp_ne_u32_e32 vcc_lo, v15, v22
	v_add_nc_u32_e32 v22, 0xfffffc10, v14
	v_bfe_u32 v24, v7, 20, 11
	v_and_b32_e32 v18, 0xffff, v18
	s_waitcnt lgkmcnt(0)
	v_lshrrev_b32_e32 v20, 16, v12
	v_cndmask_b32_e64 v15, 0, 1, vcc_lo
	v_cmp_ne_u32_e32 vcc_lo, 0, v10
	v_add_co_ci_u32_e64 v1, s1, s6, v5, s1
	v_mul_f16_sdwa v14, v81, v20 dst_sel:DWORD dst_unused:UNUSED_PAD src0_sel:WORD_1 src1_sel:DWORD
	v_or_b32_e32 v15, v16, v15
	v_cndmask_b32_e64 v10, 0, 1, vcc_lo
	v_cmp_ne_u32_e32 vcc_lo, 0, v6
	v_lshl_or_b32 v16, v22, 12, v2
	v_fmac_f16_e32 v14, v81, v12
	global_store_dword v[0:1], v19, off
	v_lshl_or_b32 v10, v10, 9, 0x7c00
	v_cndmask_b32_e64 v6, 0, 1, vcc_lo
	v_cmp_gt_i32_e32 vcc_lo, 1, v22
	v_cvt_f32_f16_e32 v14, v14
	v_lshrrev_b32_e32 v7, 16, v7
	v_and_or_b32 v6, 0xffe, v23, v6
	v_cndmask_b32_e32 v16, v16, v15, vcc_lo
	v_cmp_gt_i32_e32 vcc_lo, 31, v17
	v_sub_nc_u32_e32 v23, 0x3f1, v24
	v_cvt_f64_f32_e32 v[14:15], v14
	v_or_b32_e32 v26, 0x1000, v6
	v_and_b32_e32 v25, 7, v16
	v_cndmask_b32_e32 v8, 0x7c00, v8, vcc_lo
	v_cmp_eq_u32_e32 vcc_lo, 0x40f, v17
	v_med3_i32 v23, v23, 0, 13
	v_cmp_eq_u32_e64 s0, 3, v25
	v_cndmask_b32_e32 v8, v8, v10, vcc_lo
	v_lshrrev_b32_e32 v10, 16, v11
	v_mul_f16_sdwa v11, v81, v12 dst_sel:DWORD dst_unused:UNUSED_PAD src0_sel:WORD_1 src1_sel:DWORD
	v_lshrrev_b32_e32 v12, v23, v26
	v_cmp_lt_i32_e32 vcc_lo, 5, v25
	v_and_or_b32 v8, 0x8000, v10, v8
	v_lshrrev_b32_e32 v10, 2, v16
	v_lshlrev_b32_e32 v16, v23, v12
	s_or_b32 vcc_lo, s0, vcc_lo
	v_fma_f16 v11, v81, v20, -v11
	v_add_nc_u32_e32 v23, 0xfffffc10, v24
	v_add_co_ci_u32_e32 v17, vcc_lo, 0, v10, vcc_lo
	v_cmp_ne_u32_e32 vcc_lo, v16, v26
	v_cvt_f32_f16_e32 v20, v11
	v_mul_f64 v[10:11], v[14:15], s[4:5]
	v_cndmask_b32_e64 v16, 0, 1, vcc_lo
	v_cmp_ne_u32_e32 vcc_lo, 0, v2
	v_cvt_f64_f32_e32 v[14:15], v20
	v_or_b32_e32 v12, v12, v16
	v_cndmask_b32_e64 v2, 0, 1, vcc_lo
	v_cmp_gt_i32_e32 vcc_lo, 31, v22
	v_lshl_or_b32 v16, v23, 12, v6
	v_lshl_or_b32 v2, v2, 9, 0x7c00
	v_cndmask_b32_e32 v17, 0x7c00, v17, vcc_lo
	v_cmp_gt_i32_e32 vcc_lo, 1, v23
	v_cndmask_b32_e32 v12, v16, v12, vcc_lo
	v_cmp_eq_u32_e32 vcc_lo, 0x40f, v22
	v_and_or_b32 v5, 0x1ff, v11, v10
	v_lshl_or_b32 v16, v8, 16, v18
	v_lshrrev_b32_e32 v10, 8, v11
	v_and_b32_e32 v4, 7, v12
	v_cndmask_b32_e32 v2, v17, v2, vcc_lo
	v_cmp_ne_u32_e64 s1, 0, v5
	v_cmp_lt_i32_e32 vcc_lo, 5, v4
	v_and_or_b32 v8, 0x8000, v3, v2
	v_mul_f64 v[2:3], v[14:15], s[4:5]
	v_cmp_eq_u32_e64 s0, 3, v4
	v_lshrrev_b32_e32 v4, 2, v12
	v_cndmask_b32_e64 v5, 0, 1, s1
	v_bfe_u32 v12, v11, 20, 11
	v_lshrrev_b32_e32 v14, 16, v9
	s_or_b32 vcc_lo, s0, vcc_lo
	v_lshrrev_b32_e32 v11, 16, v11
	v_add_co_ci_u32_e32 v4, vcc_lo, 0, v4, vcc_lo
	v_and_or_b32 v10, 0xffe, v10, v5
	v_sub_nc_u32_e32 v5, 0x3f1, v12
	v_cmp_ne_u32_e32 vcc_lo, 0, v6
	v_mul_f16_sdwa v17, v80, v14 dst_sel:DWORD dst_unused:UNUSED_PAD src0_sel:WORD_1 src1_sel:DWORD
	v_add_nc_u32_e32 v12, 0xfffffc10, v12
	v_or_b32_e32 v15, 0x1000, v10
	v_med3_i32 v5, v5, 0, 13
	v_cndmask_b32_e64 v6, 0, 1, vcc_lo
	v_cmp_gt_i32_e32 vcc_lo, 31, v23
	v_fmac_f16_e32 v17, v80, v9
	v_mul_f16_sdwa v9, v80, v9 dst_sel:DWORD dst_unused:UNUSED_PAD src0_sel:WORD_1 src1_sel:DWORD
	v_lshrrev_b32_e32 v18, v5, v15
	v_lshl_or_b32 v6, v6, 9, 0x7c00
	v_cndmask_b32_e32 v4, 0x7c00, v4, vcc_lo
	v_and_or_b32 v2, 0x1ff, v3, v2
	v_cmp_eq_u32_e32 vcc_lo, 0x40f, v23
	v_lshlrev_b32_e32 v19, v5, v18
	v_bfe_u32 v20, v3, 20, 11
	v_fma_f16 v9, v80, v14, -v9
	v_cndmask_b32_e32 v6, v4, v6, vcc_lo
	v_cmp_ne_u32_e32 vcc_lo, 0, v2
	v_cvt_f32_f16_e32 v4, v17
	v_lshrrev_b32_e32 v17, 8, v3
	v_cvt_f32_f16_e32 v9, v9
	v_and_or_b32 v6, 0x8000, v7, v6
	v_cndmask_b32_e64 v2, 0, 1, vcc_lo
	v_cmp_ne_u32_e32 vcc_lo, v19, v15
	v_cvt_f64_f32_e32 v[4:5], v4
	v_and_b32_e32 v7, 0xffff, v8
	v_and_or_b32 v2, 0xffe, v17, v2
	v_cndmask_b32_e64 v15, 0, 1, vcc_lo
	v_sub_nc_u32_e32 v17, 0x3f1, v20
	v_cmp_gt_i32_e32 vcc_lo, 1, v12
	v_or_b32_e32 v19, 0x1000, v2
	v_or_b32_e32 v15, v18, v15
	v_lshl_or_b32 v18, v12, 12, v10
	v_med3_i32 v17, v17, 0, 13
	v_cndmask_b32_e32 v8, v18, v15, vcc_lo
	v_lshrrev_b32_e32 v15, v17, v19
	v_add_co_u32 v0, vcc_lo, v0, s3
	v_add_co_ci_u32_e32 v1, vcc_lo, s2, v1, vcc_lo
	v_lshlrev_b32_e32 v17, v17, v15
	v_and_b32_e32 v21, 7, v8
	v_mul_f64 v[4:5], v[4:5], s[4:5]
	v_lshl_or_b32 v18, v6, 16, v7
	v_add_co_u32 v6, vcc_lo, v0, s7
	v_cmp_ne_u32_e64 s0, v17, v19
	v_add_co_ci_u32_e32 v7, vcc_lo, s6, v1, vcc_lo
	v_cmp_lt_i32_e32 vcc_lo, 5, v21
	v_lshrrev_b32_e32 v19, 2, v8
	v_cndmask_b32_e64 v14, 0, 1, s0
	v_cmp_eq_u32_e64 s0, 3, v21
	v_add_nc_u32_e32 v17, 0xfffffc10, v20
	v_cvt_f64_f32_e32 v[8:9], v9
	global_store_dword v[0:1], v16, off
	global_store_dword v[6:7], v18, off
	v_or_b32_e32 v14, v15, v14
	s_or_b32 vcc_lo, s0, vcc_lo
	v_lshl_or_b32 v15, v17, 12, v2
	v_add_co_ci_u32_e32 v19, vcc_lo, 0, v19, vcc_lo
	v_cmp_ne_u32_e32 vcc_lo, 0, v10
	v_and_or_b32 v4, 0x1ff, v5, v4
	v_lshrrev_b32_e32 v20, 8, v5
	v_cndmask_b32_e64 v10, 0, 1, vcc_lo
	v_cmp_gt_i32_e32 vcc_lo, 1, v17
	v_bfe_u32 v21, v5, 20, 11
	v_lshl_or_b32 v10, v10, 9, 0x7c00
	v_cndmask_b32_e32 v14, v15, v14, vcc_lo
	v_cmp_gt_i32_e32 vcc_lo, 31, v12
	v_mul_f64 v[8:9], v[8:9], s[4:5]
	v_cndmask_b32_e32 v15, 0x7c00, v19, vcc_lo
	v_cmp_ne_u32_e32 vcc_lo, 0, v4
	v_and_b32_e32 v19, 7, v14
	v_lshrrev_b32_e32 v14, 2, v14
	v_cndmask_b32_e64 v4, 0, 1, vcc_lo
	v_cmp_eq_u32_e32 vcc_lo, 0x40f, v12
	v_cmp_eq_u32_e64 s0, 3, v19
	v_sub_nc_u32_e32 v12, 0x3f1, v21
	v_and_or_b32 v4, 0xffe, v20, v4
	v_cndmask_b32_e32 v10, v15, v10, vcc_lo
	v_cmp_lt_i32_e32 vcc_lo, 5, v19
	v_med3_i32 v12, v12, 0, 13
	v_lshrrev_b32_e32 v19, 16, v13
	v_or_b32_e32 v15, 0x1000, v4
	v_and_or_b32 v10, 0x8000, v11, v10
	s_or_b32 vcc_lo, s0, vcc_lo
	v_add_co_ci_u32_e32 v14, vcc_lo, 0, v14, vcc_lo
	v_cmp_ne_u32_e32 vcc_lo, 0, v2
	v_lshrrev_b32_e32 v20, v12, v15
	v_mul_f16_sdwa v22, v79, v19 dst_sel:DWORD dst_unused:UNUSED_PAD src0_sel:WORD_1 src1_sel:DWORD
	v_and_b32_e32 v10, 0xffff, v10
	v_cndmask_b32_e64 v2, 0, 1, vcc_lo
	v_cmp_gt_i32_e32 vcc_lo, 31, v17
	v_lshlrev_b32_e32 v11, v12, v20
	v_fmac_f16_e32 v22, v79, v13
	v_lshl_or_b32 v2, v2, 9, 0x7c00
	v_cndmask_b32_e32 v14, 0x7c00, v14, vcc_lo
	v_cmp_eq_u32_e32 vcc_lo, 0x40f, v17
	v_lshrrev_b32_e32 v17, 8, v9
	v_cndmask_b32_e32 v12, v14, v2, vcc_lo
	v_and_or_b32 v2, 0x1ff, v9, v8
	v_cmp_ne_u32_e32 vcc_lo, v11, v15
	v_lshrrev_b32_e32 v14, 16, v3
	v_cvt_f32_f16_e32 v3, v22
	v_add_nc_u32_e32 v15, 0xfffffc10, v21
	v_bfe_u32 v21, v9, 20, 11
	v_cndmask_b32_e64 v8, 0, 1, vcc_lo
	v_cmp_ne_u32_e32 vcc_lo, 0, v2
	v_cvt_f64_f32_e32 v[2:3], v3
	v_and_or_b32 v12, 0x8000, v14, v12
	v_lshl_or_b32 v14, v15, 12, v4
	v_or_b32_e32 v8, v20, v8
	v_cndmask_b32_e64 v11, 0, 1, vcc_lo
	v_cmp_gt_i32_e32 vcc_lo, 1, v15
	v_lshl_or_b32 v12, v12, 16, v10
	v_and_or_b32 v17, 0xffe, v17, v11
	v_sub_nc_u32_e32 v11, 0x3f1, v21
	v_cndmask_b32_e32 v8, v14, v8, vcc_lo
	v_add_co_u32 v0, vcc_lo, v6, s3
	v_or_b32_e32 v14, 0x1000, v17
	v_med3_i32 v11, v11, 0, 13
	v_and_b32_e32 v10, 7, v8
	v_add_co_ci_u32_e32 v1, vcc_lo, s2, v7, vcc_lo
	v_mul_f16_sdwa v7, v79, v13 dst_sel:DWORD dst_unused:UNUSED_PAD src0_sel:WORD_1 src1_sel:DWORD
	v_lshrrev_b32_e32 v16, v11, v14
	v_cmp_lt_i32_e32 vcc_lo, 5, v10
	v_mul_f64 v[2:3], v[2:3], s[4:5]
	v_cmp_eq_u32_e64 s0, 3, v10
	v_lshrrev_b32_e32 v8, 2, v8
	v_lshlrev_b32_e32 v6, v11, v16
	v_fma_f16 v7, v79, v19, -v7
	v_add_nc_u32_e32 v13, 0xfffffc10, v21
	s_or_b32 vcc_lo, s0, vcc_lo
	global_store_dword v[0:1], v12, off
	v_cmp_ne_u32_e64 s1, v6, v14
	v_add_co_ci_u32_e32 v8, vcc_lo, 0, v8, vcc_lo
	v_cmp_ne_u32_e32 vcc_lo, 0, v4
	v_lshl_or_b32 v11, v13, 12, v17
	v_cndmask_b32_e64 v6, 0, 1, s1
	v_add_nc_u32_e32 v14, 0x600, v75
	v_cndmask_b32_e64 v4, 0, 1, vcc_lo
	v_cmp_gt_i32_e32 vcc_lo, 1, v13
	v_or_b32_e32 v10, v16, v6
	v_cvt_f32_f16_e32 v6, v7
	v_lshl_or_b32 v4, v4, 9, 0x7c00
	v_and_or_b32 v2, 0x1ff, v3, v2
	v_cndmask_b32_e32 v16, v11, v10, vcc_lo
	v_cvt_f64_f32_e32 v[6:7], v6
	v_cmp_gt_i32_e32 vcc_lo, 31, v15
	ds_read2_b32 v[10:11], v14 offset0:120 offset1:183
	v_bfe_u32 v19, v3, 20, 11
	v_and_b32_e32 v14, 7, v16
	v_lshrrev_b32_e32 v18, 8, v3
	v_cndmask_b32_e32 v8, 0x7c00, v8, vcc_lo
	v_cmp_ne_u32_e32 vcc_lo, 0, v2
	v_cmp_eq_u32_e64 s0, 3, v14
	v_cndmask_b32_e64 v2, 0, 1, vcc_lo
	v_cmp_eq_u32_e32 vcc_lo, 0x40f, v15
	v_lshrrev_b32_e32 v15, 16, v5
	v_and_or_b32 v2, 0xffe, v18, v2
	v_cndmask_b32_e32 v8, v8, v4, vcc_lo
	v_sub_nc_u32_e32 v4, 0x3f1, v19
	v_cmp_lt_i32_e32 vcc_lo, 5, v14
	v_lshrrev_b32_e32 v14, 2, v16
	v_or_b32_e32 v16, 0x1000, v2
	s_waitcnt lgkmcnt(0)
	v_lshrrev_b32_e32 v20, 16, v10
	v_med3_i32 v18, v4, 0, 13
	v_mul_f64 v[4:5], v[6:7], s[4:5]
	s_or_b32 vcc_lo, s0, vcc_lo
	v_and_or_b32 v8, 0x8000, v15, v8
	v_add_co_ci_u32_e32 v6, vcc_lo, 0, v14, vcc_lo
	v_cmp_ne_u32_e32 vcc_lo, 0, v17
	v_lshrrev_b32_e32 v14, v18, v16
	v_mul_f16_sdwa v17, v78, v20 dst_sel:DWORD dst_unused:UNUSED_PAD src0_sel:WORD_1 src1_sel:DWORD
	v_and_b32_e32 v8, 0xffff, v8
	v_cndmask_b32_e64 v7, 0, 1, vcc_lo
	v_cmp_gt_i32_e32 vcc_lo, 31, v13
	v_lshlrev_b32_e32 v15, v18, v14
	v_fmac_f16_e32 v17, v78, v10
	v_mul_f16_sdwa v10, v78, v10 dst_sel:DWORD dst_unused:UNUSED_PAD src0_sel:WORD_1 src1_sel:DWORD
	v_lshl_or_b32 v7, v7, 9, 0x7c00
	v_cndmask_b32_e32 v6, 0x7c00, v6, vcc_lo
	v_cmp_eq_u32_e32 vcc_lo, 0x40f, v13
	v_fma_f16 v10, v78, v20, -v10
	v_cndmask_b32_e32 v6, v6, v7, vcc_lo
	v_cmp_ne_u32_e32 vcc_lo, v15, v16
	v_and_or_b32 v4, 0x1ff, v5, v4
	v_lshrrev_b32_e32 v7, 16, v9
	v_cvt_f32_f16_e32 v9, v17
	v_add_nc_u32_e32 v15, 0xfffffc10, v19
	v_cndmask_b32_e64 v13, 0, 1, vcc_lo
	v_cmp_ne_u32_e32 vcc_lo, 0, v4
	v_and_or_b32 v16, 0x8000, v7, v6
	v_cvt_f64_f32_e32 v[6:7], v9
	v_bfe_u32 v17, v5, 20, 11
	v_or_b32_e32 v9, v14, v13
	v_lshl_or_b32 v13, v15, 12, v2
	v_cndmask_b32_e64 v4, 0, 1, vcc_lo
	v_lshrrev_b32_e32 v14, 8, v5
	v_cmp_gt_i32_e32 vcc_lo, 1, v15
	v_lshl_or_b32 v8, v16, 16, v8
	v_cvt_f32_f16_e32 v10, v10
	v_lshrrev_b32_e32 v5, 16, v5
	v_and_or_b32 v4, 0xffe, v14, v4
	v_cndmask_b32_e32 v9, v13, v9, vcc_lo
	v_sub_nc_u32_e32 v13, 0x3f1, v17
	v_add_co_u32 v0, vcc_lo, v0, s7
	v_or_b32_e32 v14, 0x1000, v4
	v_and_b32_e32 v12, 7, v9
	v_med3_i32 v13, v13, 0, 13
	v_add_co_ci_u32_e32 v1, vcc_lo, s6, v1, vcc_lo
	v_add_nc_u32_e32 v17, 0xfffffc10, v17
	v_cmp_lt_i32_e32 vcc_lo, 5, v12
	v_lshrrev_b32_e32 v16, v13, v14
	v_cmp_eq_u32_e64 s0, 3, v12
	v_mul_f64 v[6:7], v[6:7], s[4:5]
	global_store_dword v[0:1], v8, off
	v_lshrrev_b32_e32 v8, 2, v9
	v_lshlrev_b32_e32 v9, v13, v16
	s_or_b32 vcc_lo, s0, vcc_lo
	v_cvt_f64_f32_e32 v[12:13], v10
	v_add_co_u32 v0, s1, v0, s3
	v_add_co_ci_u32_e32 v18, vcc_lo, 0, v8, vcc_lo
	v_cmp_ne_u32_e32 vcc_lo, v9, v14
	v_add_nc_u32_e32 v8, 0x1000, v75
	v_add_co_ci_u32_e64 v1, s1, s2, v1, s1
	v_cndmask_b32_e64 v14, 0, 1, vcc_lo
	v_cmp_ne_u32_e32 vcc_lo, 0, v2
	ds_read2_b32 v[8:9], v8 offset0:110 offset1:173
	v_or_b32_e32 v10, v16, v14
	v_cndmask_b32_e64 v2, 0, 1, vcc_lo
	v_cmp_gt_i32_e32 vcc_lo, 31, v15
	v_lshl_or_b32 v14, v17, 12, v4
	v_and_or_b32 v6, 0x1ff, v7, v6
	v_lshl_or_b32 v2, v2, 9, 0x7c00
	v_cndmask_b32_e32 v16, 0x7c00, v18, vcc_lo
	v_cmp_gt_i32_e32 vcc_lo, 1, v17
	v_bfe_u32 v18, v7, 20, 11
	v_cndmask_b32_e32 v10, v14, v10, vcc_lo
	v_cmp_ne_u32_e32 vcc_lo, 0, v6
	v_lshrrev_b32_e32 v14, 8, v7
	v_sub_nc_u32_e32 v19, 0x3f1, v18
	s_waitcnt lgkmcnt(0)
	v_lshrrev_b32_e32 v20, 16, v8
	v_add_nc_u32_e32 v18, 0xfffffc10, v18
	v_cndmask_b32_e64 v6, 0, 1, vcc_lo
	v_cmp_eq_u32_e32 vcc_lo, 0x40f, v15
	v_lshrrev_b32_e32 v7, 16, v7
	v_and_or_b32 v6, 0xffe, v14, v6
	v_cndmask_b32_e32 v15, v16, v2, vcc_lo
	v_and_b32_e32 v16, 7, v10
	v_lshrrev_b32_e32 v14, 16, v3
	v_mul_f64 v[2:3], v[12:13], s[4:5]
	v_lshrrev_b32_e32 v10, 2, v10
	v_or_b32_e32 v21, 0x1000, v6
	v_cmp_lt_i32_e32 vcc_lo, 5, v16
	v_cmp_eq_u32_e64 s0, 3, v16
	v_med3_i32 v12, v19, 0, 13
	v_mul_f16_sdwa v13, v77, v20 dst_sel:DWORD dst_unused:UNUSED_PAD src0_sel:WORD_1 src1_sel:DWORD
	v_and_or_b32 v14, 0x8000, v14, v15
	s_or_b32 vcc_lo, s0, vcc_lo
	v_lshrrev_b32_e32 v15, v12, v21
	v_add_co_ci_u32_e32 v10, vcc_lo, 0, v10, vcc_lo
	v_cmp_ne_u32_e32 vcc_lo, 0, v4
	v_fmac_f16_e32 v13, v77, v8
	v_lshlrev_b32_e32 v16, v12, v15
	v_and_b32_e32 v14, 0xffff, v14
	v_mul_f16_sdwa v8, v77, v8 dst_sel:DWORD dst_unused:UNUSED_PAD src0_sel:WORD_1 src1_sel:DWORD
	v_cndmask_b32_e64 v4, 0, 1, vcc_lo
	v_cmp_gt_i32_e32 vcc_lo, 31, v17
	v_cvt_f32_f16_e32 v13, v13
	v_and_or_b32 v2, 0x1ff, v3, v2
	v_lshl_or_b32 v4, v4, 9, 0x7c00
	v_cndmask_b32_e32 v10, 0x7c00, v10, vcc_lo
	v_cmp_ne_u32_e32 vcc_lo, v16, v21
	v_cvt_f64_f32_e32 v[12:13], v13
	v_fma_f16 v8, v77, v20, -v8
	v_cndmask_b32_e64 v16, 0, 1, vcc_lo
	v_cmp_eq_u32_e32 vcc_lo, 0x40f, v17
	v_bfe_u32 v17, v3, 20, 11
	v_cvt_f32_f16_e32 v8, v8
	v_cndmask_b32_e32 v4, v10, v4, vcc_lo
	v_cmp_ne_u32_e32 vcc_lo, 0, v2
	v_or_b32_e32 v10, v15, v16
	v_lshrrev_b32_e32 v16, 8, v3
	v_lshl_or_b32 v15, v18, 12, v6
	v_cndmask_b32_e64 v2, 0, 1, vcc_lo
	v_cmp_gt_i32_e32 vcc_lo, 1, v18
	v_and_or_b32 v2, 0xffe, v16, v2
	v_sub_nc_u32_e32 v16, 0x3f1, v17
	v_cndmask_b32_e32 v10, v15, v10, vcc_lo
	v_and_or_b32 v15, 0x8000, v5, v4
	v_mul_f64 v[4:5], v[12:13], s[4:5]
	v_or_b32_e32 v21, 0x1000, v2
	v_med3_i32 v12, v16, 0, 13
	v_and_b32_e32 v19, 7, v10
	v_lshl_or_b32 v14, v15, 16, v14
	v_lshrrev_b32_e32 v10, 2, v10
	v_lshrrev_b32_e32 v15, v12, v21
	v_cmp_lt_i32_e32 vcc_lo, 5, v19
	v_cmp_eq_u32_e64 s0, 3, v19
	v_lshlrev_b32_e32 v12, v12, v15
	s_or_b32 vcc_lo, s0, vcc_lo
	v_add_co_ci_u32_e32 v10, vcc_lo, 0, v10, vcc_lo
	v_cmp_ne_u32_e32 vcc_lo, v12, v21
	v_cvt_f64_f32_e32 v[12:13], v8
	v_add_nc_u32_e32 v8, 0xfffffc10, v17
	v_and_or_b32 v4, 0x1ff, v5, v4
	v_cndmask_b32_e64 v16, 0, 1, vcc_lo
	v_cmp_gt_i32_e32 vcc_lo, 31, v18
	v_lshrrev_b32_e32 v17, 8, v5
	v_bfe_u32 v19, v5, 20, 11
	v_or_b32_e32 v15, v15, v16
	v_cndmask_b32_e32 v10, 0x7c00, v10, vcc_lo
	v_cmp_ne_u32_e32 vcc_lo, 0, v4
	v_lshl_or_b32 v16, v8, 12, v2
	v_cndmask_b32_e64 v4, 0, 1, vcc_lo
	v_cmp_ne_u32_e32 vcc_lo, 0, v6
	v_and_or_b32 v4, 0xffe, v17, v4
	v_cndmask_b32_e64 v6, 0, 1, vcc_lo
	v_cmp_gt_i32_e32 vcc_lo, 1, v8
	v_lshrrev_b32_e32 v17, 16, v11
	v_mul_f64 v[12:13], v[12:13], s[4:5]
	v_or_b32_e32 v21, 0x1000, v4
	v_lshl_or_b32 v6, v6, 9, 0x7c00
	v_cndmask_b32_e32 v15, v16, v15, vcc_lo
	v_sub_nc_u32_e32 v16, 0x3f1, v19
	v_cmp_eq_u32_e32 vcc_lo, 0x40f, v18
	v_mul_f16_sdwa v22, v76, v17 dst_sel:DWORD dst_unused:UNUSED_PAD src0_sel:WORD_1 src1_sel:DWORD
	v_add_nc_u32_e32 v19, 0xfffffc10, v19
	v_and_b32_e32 v20, 7, v15
	v_med3_i32 v16, v16, 0, 13
	v_cndmask_b32_e32 v6, v10, v6, vcc_lo
	v_fmac_f16_e32 v22, v76, v11
	v_cmp_lt_i32_e32 vcc_lo, 5, v20
	v_lshrrev_b32_e32 v10, v16, v21
	v_cmp_eq_u32_e64 s0, 3, v20
	v_and_or_b32 v18, 0x8000, v7, v6
	v_lshrrev_b32_e32 v6, 2, v15
	v_cvt_f32_f16_e32 v15, v22
	v_lshlrev_b32_e32 v7, v16, v10
	s_or_b32 vcc_lo, s0, vcc_lo
	v_add_co_ci_u32_e32 v16, vcc_lo, 0, v6, vcc_lo
	v_cmp_ne_u32_e32 vcc_lo, v7, v21
	v_cvt_f64_f32_e32 v[6:7], v15
	v_lshl_or_b32 v15, v19, 12, v4
	v_and_or_b32 v12, 0x1ff, v13, v12
	v_cndmask_b32_e64 v20, 0, 1, vcc_lo
	v_cmp_ne_u32_e32 vcc_lo, 0, v2
	v_or_b32_e32 v10, v10, v20
	v_cndmask_b32_e64 v2, 0, 1, vcc_lo
	v_cmp_gt_i32_e32 vcc_lo, 31, v8
	v_bfe_u32 v20, v13, 20, 11
	v_lshl_or_b32 v2, v2, 9, 0x7c00
	v_cndmask_b32_e32 v16, 0x7c00, v16, vcc_lo
	v_cmp_gt_i32_e32 vcc_lo, 1, v19
	v_cndmask_b32_e32 v10, v15, v10, vcc_lo
	v_cmp_ne_u32_e32 vcc_lo, 0, v12
	v_lshrrev_b32_e32 v15, 8, v13
	v_lshrrev_b32_e32 v13, 16, v13
	v_and_b32_e32 v21, 7, v10
	v_cndmask_b32_e64 v12, 0, 1, vcc_lo
	v_cmp_eq_u32_e32 vcc_lo, 0x40f, v8
	v_lshrrev_b32_e32 v10, 2, v10
	v_cmp_eq_u32_e64 s0, 3, v21
	v_and_or_b32 v12, 0xffe, v15, v12
	v_sub_nc_u32_e32 v15, 0x3f1, v20
	v_cndmask_b32_e32 v8, v16, v2, vcc_lo
	v_cmp_lt_i32_e32 vcc_lo, 5, v21
	v_lshrrev_b32_e32 v16, 16, v3
	v_mul_f64 v[2:3], v[6:7], s[4:5]
	v_or_b32_e32 v6, 0x1000, v12
	v_med3_i32 v7, v15, 0, 13
	s_or_b32 vcc_lo, s0, vcc_lo
	v_and_or_b32 v8, 0x8000, v16, v8
	v_add_co_ci_u32_e32 v10, vcc_lo, 0, v10, vcc_lo
	v_lshrrev_b32_e32 v16, v7, v6
	v_cmp_ne_u32_e32 vcc_lo, 0, v4
	v_and_b32_e32 v15, 0xffff, v18
	v_add_nc_u32_e32 v18, 0xfffffc10, v20
	v_lshlrev_b32_e32 v7, v7, v16
	v_cndmask_b32_e64 v4, 0, 1, vcc_lo
	v_cmp_gt_i32_e32 vcc_lo, 31, v19
	v_lshl_or_b32 v15, v8, 16, v15
	v_lshl_or_b32 v4, v4, 9, 0x7c00
	v_cndmask_b32_e32 v8, 0x7c00, v10, vcc_lo
	v_cmp_ne_u32_e32 vcc_lo, v7, v6
	v_mul_f16_sdwa v10, v76, v11 dst_sel:DWORD dst_unused:UNUSED_PAD src0_sel:WORD_1 src1_sel:DWORD
	v_and_or_b32 v2, 0x1ff, v3, v2
	v_lshrrev_b32_e32 v11, 8, v3
	v_cndmask_b32_e64 v6, 0, 1, vcc_lo
	v_cmp_eq_u32_e32 vcc_lo, 0x40f, v19
	v_fma_f16 v7, v76, v17, -v10
	v_lshl_or_b32 v10, v18, 12, v12
	v_lshrrev_b32_e32 v17, 16, v9
	v_cndmask_b32_e32 v8, v8, v4, vcc_lo
	v_cmp_ne_u32_e32 vcc_lo, 0, v2
	v_or_b32_e32 v4, v16, v6
	v_cvt_f32_f16_e32 v6, v7
	v_bfe_u32 v16, v3, 20, 11
	v_mul_f16_sdwa v22, v74, v17 dst_sel:DWORD dst_unused:UNUSED_PAD src0_sel:WORD_1 src1_sel:DWORD
	v_cndmask_b32_e64 v2, 0, 1, vcc_lo
	v_cmp_gt_i32_e32 vcc_lo, 1, v18
	v_cvt_f64_f32_e32 v[6:7], v6
	v_lshrrev_b32_e32 v3, 16, v3
	v_fmac_f16_e32 v22, v74, v9
	v_and_or_b32 v2, 0xffe, v11, v2
	v_cndmask_b32_e32 v10, v10, v4, vcc_lo
	v_sub_nc_u32_e32 v4, 0x3f1, v16
	v_lshrrev_b32_e32 v11, 16, v5
	v_add_nc_u32_e32 v16, 0xfffffc10, v16
	v_or_b32_e32 v20, 0x1000, v2
	v_and_b32_e32 v19, 7, v10
	v_med3_i32 v21, v4, 0, 13
	v_add_co_u32 v4, vcc_lo, v0, s7
	v_and_or_b32 v23, 0x8000, v11, v8
	v_add_co_ci_u32_e32 v5, vcc_lo, s6, v1, vcc_lo
	v_lshrrev_b32_e32 v8, v21, v20
	v_cmp_lt_i32_e32 vcc_lo, 5, v19
	v_cmp_eq_u32_e64 s0, 3, v19
	v_lshrrev_b32_e32 v10, 2, v10
	v_cvt_f32_f16_e32 v11, v22
	v_lshlrev_b32_e32 v19, v21, v8
	v_mul_f64 v[6:7], v[6:7], s[4:5]
	s_or_b32 vcc_lo, s0, vcc_lo
	v_mul_f16_sdwa v9, v74, v9 dst_sel:DWORD dst_unused:UNUSED_PAD src0_sel:WORD_1 src1_sel:DWORD
	v_add_co_ci_u32_e32 v21, vcc_lo, 0, v10, vcc_lo
	v_cmp_ne_u32_e32 vcc_lo, v19, v20
	v_cvt_f64_f32_e32 v[10:11], v11
	v_fma_f16 v9, v74, v17, -v9
	v_cndmask_b32_e64 v19, 0, 1, vcc_lo
	v_cmp_ne_u32_e32 vcc_lo, 0, v12
	v_or_b32_e32 v8, v8, v19
	v_cndmask_b32_e64 v12, 0, 1, vcc_lo
	v_cmp_gt_i32_e32 vcc_lo, 31, v18
	v_lshl_or_b32 v19, v16, 12, v2
	v_lshl_or_b32 v12, v12, 9, 0x7c00
	v_cndmask_b32_e32 v17, 0x7c00, v21, vcc_lo
	v_cmp_gt_i32_e32 vcc_lo, 1, v16
	v_and_or_b32 v6, 0x1ff, v7, v6
	v_bfe_u32 v20, v7, 20, 11
	v_cndmask_b32_e32 v19, v19, v8, vcc_lo
	v_cvt_f32_f16_e32 v8, v9
	v_cmp_eq_u32_e32 vcc_lo, 0x40f, v18
	v_mul_f64 v[10:11], v[10:11], s[4:5]
	v_lshrrev_b32_e32 v18, 8, v7
	v_lshrrev_b32_e32 v7, 16, v7
	v_cvt_f64_f32_e32 v[8:9], v8
	v_cndmask_b32_e32 v12, v17, v12, vcc_lo
	v_cmp_ne_u32_e32 vcc_lo, 0, v6
	v_and_b32_e32 v17, 7, v19
	v_and_or_b32 v12, 0x8000, v13, v12
	v_and_b32_e32 v13, 0xffff, v23
	v_cndmask_b32_e64 v6, 0, 1, vcc_lo
	v_cmp_lt_i32_e32 vcc_lo, 5, v17
	v_cmp_eq_u32_e64 s0, 3, v17
	v_lshl_or_b32 v12, v12, 16, v13
	v_lshrrev_b32_e32 v13, 2, v19
	v_and_or_b32 v6, 0xffe, v18, v6
	v_sub_nc_u32_e32 v18, 0x3f1, v20
	s_or_b32 vcc_lo, s0, vcc_lo
	v_add_co_ci_u32_e32 v13, vcc_lo, 0, v13, vcc_lo
	v_or_b32_e32 v17, 0x1000, v6
	v_med3_i32 v18, v18, 0, 13
	v_cmp_ne_u32_e32 vcc_lo, 0, v2
	v_and_or_b32 v10, 0x1ff, v11, v10
	v_mul_f64 v[8:9], v[8:9], s[4:5]
	v_lshrrev_b32_e32 v21, 8, v11
	v_lshrrev_b32_e32 v19, v18, v17
	v_cndmask_b32_e64 v2, 0, 1, vcc_lo
	v_cmp_gt_i32_e32 vcc_lo, 31, v16
	v_bfe_u32 v22, v11, 20, 11
	v_lshrrev_b32_e32 v11, 16, v11
	v_lshlrev_b32_e32 v18, v18, v19
	v_lshl_or_b32 v2, v2, 9, 0x7c00
	v_cndmask_b32_e32 v13, 0x7c00, v13, vcc_lo
	v_cmp_ne_u32_e32 vcc_lo, 0, v10
	v_cndmask_b32_e64 v10, 0, 1, vcc_lo
	v_cmp_ne_u32_e32 vcc_lo, v18, v17
	v_add_nc_u32_e32 v18, 0xfffffc10, v20
	v_sub_nc_u32_e32 v20, 0x3f1, v22
	v_and_or_b32 v10, 0xffe, v21, v10
	v_cndmask_b32_e64 v17, 0, 1, vcc_lo
	v_cmp_eq_u32_e32 vcc_lo, 0x40f, v16
	v_lshl_or_b32 v16, v18, 12, v6
	v_and_or_b32 v8, 0x1ff, v9, v8
	v_bfe_u32 v21, v9, 20, 11
	v_cndmask_b32_e32 v2, v13, v2, vcc_lo
	v_or_b32_e32 v13, v19, v17
	v_or_b32_e32 v17, 0x1000, v10
	v_med3_i32 v19, v20, 0, 13
	v_cmp_gt_i32_e32 vcc_lo, 1, v18
	v_lshrrev_b32_e32 v20, 8, v9
	v_and_or_b32 v2, 0x8000, v3, v2
	v_lshrrev_b32_e32 v9, 16, v9
	v_cndmask_b32_e32 v13, v16, v13, vcc_lo
	v_lshrrev_b32_e32 v16, v19, v17
	v_cmp_ne_u32_e32 vcc_lo, 0, v8
	v_and_b32_e32 v23, 7, v13
	v_lshlrev_b32_e32 v19, v19, v16
	v_cndmask_b32_e64 v8, 0, 1, vcc_lo
	v_lshrrev_b32_e32 v13, 2, v13
	v_cmp_lt_i32_e32 vcc_lo, 5, v23
	v_cmp_ne_u32_e64 s0, v19, v17
	v_and_or_b32 v3, 0xffe, v20, v8
	v_sub_nc_u32_e32 v8, 0x3f1, v21
	v_add_nc_u32_e32 v20, 0xfffffc10, v22
	v_cndmask_b32_e64 v17, 0, 1, s0
	v_cmp_eq_u32_e64 s0, 3, v23
	v_or_b32_e32 v19, 0x1000, v3
	v_med3_i32 v8, v8, 0, 13
	v_lshl_or_b32 v22, v20, 12, v10
	v_or_b32_e32 v16, v16, v17
	s_or_b32 vcc_lo, s0, vcc_lo
	v_add_co_ci_u32_e32 v13, vcc_lo, 0, v13, vcc_lo
	v_lshrrev_b32_e32 v17, v8, v19
	v_cmp_gt_i32_e32 vcc_lo, 1, v20
	v_lshlrev_b32_e32 v8, v8, v17
	v_cndmask_b32_e32 v16, v22, v16, vcc_lo
	v_cmp_ne_u32_e32 vcc_lo, 0, v6
	v_cndmask_b32_e64 v6, 0, 1, vcc_lo
	v_cmp_ne_u32_e32 vcc_lo, v8, v19
	v_add_nc_u32_e32 v19, 0xfffffc10, v21
	v_and_b32_e32 v21, 7, v16
	v_lshl_or_b32 v6, v6, 9, 0x7c00
	v_cndmask_b32_e64 v8, 0, 1, vcc_lo
	v_cmp_gt_i32_e32 vcc_lo, 31, v18
	v_cmp_gt_i32_e64 s1, 1, v19
	v_cmp_eq_u32_e64 s0, 3, v21
	v_or_b32_e32 v8, v17, v8
	v_lshl_or_b32 v17, v19, 12, v3
	v_cndmask_b32_e32 v13, 0x7c00, v13, vcc_lo
	v_cmp_lt_i32_e32 vcc_lo, 5, v21
	v_cndmask_b32_e64 v8, v17, v8, s1
	v_cmp_eq_u32_e64 s1, 0x40f, v18
	s_or_b32 vcc_lo, s0, vcc_lo
	v_cndmask_b32_e64 v6, v13, v6, s1
	v_lshrrev_b32_e32 v13, 2, v16
	v_and_b32_e32 v16, 7, v8
	v_lshrrev_b32_e32 v8, 2, v8
	v_cmp_gt_i32_e64 s1, 31, v20
	v_and_or_b32 v6, 0x8000, v7, v6
	v_add_co_ci_u32_e32 v13, vcc_lo, 0, v13, vcc_lo
	v_cmp_ne_u32_e32 vcc_lo, 0, v10
	v_cmp_eq_u32_e64 s0, 3, v16
	v_and_b32_e32 v7, 0xffff, v2
	v_cndmask_b32_e64 v13, 0x7c00, v13, s1
	v_cndmask_b32_e64 v10, 0, 1, vcc_lo
	v_cmp_lt_i32_e32 vcc_lo, 5, v16
	v_lshl_or_b32 v10, v10, 9, 0x7c00
	s_or_b32 vcc_lo, s0, vcc_lo
	v_add_co_ci_u32_e32 v8, vcc_lo, 0, v8, vcc_lo
	v_cmp_ne_u32_e32 vcc_lo, 0, v3
	v_cndmask_b32_e64 v3, 0, 1, vcc_lo
	v_cmp_eq_u32_e32 vcc_lo, 0x40f, v20
	v_lshl_or_b32 v3, v3, 9, 0x7c00
	v_cndmask_b32_e32 v10, v13, v10, vcc_lo
	v_cmp_gt_i32_e32 vcc_lo, 31, v19
	v_and_or_b32 v10, 0x8000, v11, v10
	v_cndmask_b32_e32 v8, 0x7c00, v8, vcc_lo
	v_cmp_eq_u32_e32 vcc_lo, 0x40f, v19
	v_lshl_or_b32 v11, v6, 16, v7
	v_cndmask_b32_e32 v8, v8, v3, vcc_lo
	v_add_co_u32 v2, vcc_lo, v4, s3
	v_add_co_ci_u32_e32 v3, vcc_lo, s2, v5, vcc_lo
	v_and_or_b32 v8, 0x8000, v9, v8
	v_and_b32_e32 v9, 0xffff, v10
	v_add_co_u32 v6, vcc_lo, v2, s7
	v_add_co_ci_u32_e32 v7, vcc_lo, s6, v3, vcc_lo
	v_lshl_or_b32 v10, v8, 16, v9
	v_add_co_u32 v8, vcc_lo, v6, s3
	v_add_co_ci_u32_e32 v9, vcc_lo, s2, v7, vcc_lo
	global_store_dword v[0:1], v14, off
	global_store_dword v[4:5], v15, off
	;; [unrolled: 1-line block ×5, first 2 shown]
.LBB0_26:
	s_endpgm
	.section	.rodata,"a",@progbits
	.p2align	6, 0x0
	.amdhsa_kernel bluestein_single_fwd_len1260_dim1_half_op_CI_CI
		.amdhsa_group_segment_fixed_size 5040
		.amdhsa_private_segment_fixed_size 0
		.amdhsa_kernarg_size 104
		.amdhsa_user_sgpr_count 6
		.amdhsa_user_sgpr_private_segment_buffer 1
		.amdhsa_user_sgpr_dispatch_ptr 0
		.amdhsa_user_sgpr_queue_ptr 0
		.amdhsa_user_sgpr_kernarg_segment_ptr 1
		.amdhsa_user_sgpr_dispatch_id 0
		.amdhsa_user_sgpr_flat_scratch_init 0
		.amdhsa_user_sgpr_private_segment_size 0
		.amdhsa_wavefront_size32 1
		.amdhsa_uses_dynamic_stack 0
		.amdhsa_system_sgpr_private_segment_wavefront_offset 0
		.amdhsa_system_sgpr_workgroup_id_x 1
		.amdhsa_system_sgpr_workgroup_id_y 0
		.amdhsa_system_sgpr_workgroup_id_z 0
		.amdhsa_system_sgpr_workgroup_info 0
		.amdhsa_system_vgpr_workitem_id 0
		.amdhsa_next_free_vgpr 229
		.amdhsa_next_free_sgpr 20
		.amdhsa_reserve_vcc 1
		.amdhsa_reserve_flat_scratch 0
		.amdhsa_float_round_mode_32 0
		.amdhsa_float_round_mode_16_64 0
		.amdhsa_float_denorm_mode_32 3
		.amdhsa_float_denorm_mode_16_64 3
		.amdhsa_dx10_clamp 1
		.amdhsa_ieee_mode 1
		.amdhsa_fp16_overflow 0
		.amdhsa_workgroup_processor_mode 1
		.amdhsa_memory_ordered 1
		.amdhsa_forward_progress 0
		.amdhsa_shared_vgpr_count 0
		.amdhsa_exception_fp_ieee_invalid_op 0
		.amdhsa_exception_fp_denorm_src 0
		.amdhsa_exception_fp_ieee_div_zero 0
		.amdhsa_exception_fp_ieee_overflow 0
		.amdhsa_exception_fp_ieee_underflow 0
		.amdhsa_exception_fp_ieee_inexact 0
		.amdhsa_exception_int_div_zero 0
	.end_amdhsa_kernel
	.text
.Lfunc_end0:
	.size	bluestein_single_fwd_len1260_dim1_half_op_CI_CI, .Lfunc_end0-bluestein_single_fwd_len1260_dim1_half_op_CI_CI
                                        ; -- End function
	.section	.AMDGPU.csdata,"",@progbits
; Kernel info:
; codeLenInByte = 34260
; NumSgprs: 22
; NumVgprs: 229
; ScratchSize: 0
; MemoryBound: 0
; FloatMode: 240
; IeeeMode: 1
; LDSByteSize: 5040 bytes/workgroup (compile time only)
; SGPRBlocks: 2
; VGPRBlocks: 28
; NumSGPRsForWavesPerEU: 22
; NumVGPRsForWavesPerEU: 229
; Occupancy: 4
; WaveLimiterHint : 1
; COMPUTE_PGM_RSRC2:SCRATCH_EN: 0
; COMPUTE_PGM_RSRC2:USER_SGPR: 6
; COMPUTE_PGM_RSRC2:TRAP_HANDLER: 0
; COMPUTE_PGM_RSRC2:TGID_X_EN: 1
; COMPUTE_PGM_RSRC2:TGID_Y_EN: 0
; COMPUTE_PGM_RSRC2:TGID_Z_EN: 0
; COMPUTE_PGM_RSRC2:TIDIG_COMP_CNT: 0
	.text
	.p2alignl 6, 3214868480
	.fill 48, 4, 3214868480
	.type	__hip_cuid_1a216b3f1d6f7900,@object ; @__hip_cuid_1a216b3f1d6f7900
	.section	.bss,"aw",@nobits
	.globl	__hip_cuid_1a216b3f1d6f7900
__hip_cuid_1a216b3f1d6f7900:
	.byte	0                               ; 0x0
	.size	__hip_cuid_1a216b3f1d6f7900, 1

	.ident	"AMD clang version 19.0.0git (https://github.com/RadeonOpenCompute/llvm-project roc-6.4.0 25133 c7fe45cf4b819c5991fe208aaa96edf142730f1d)"
	.section	".note.GNU-stack","",@progbits
	.addrsig
	.addrsig_sym __hip_cuid_1a216b3f1d6f7900
	.amdgpu_metadata
---
amdhsa.kernels:
  - .args:
      - .actual_access:  read_only
        .address_space:  global
        .offset:         0
        .size:           8
        .value_kind:     global_buffer
      - .actual_access:  read_only
        .address_space:  global
        .offset:         8
        .size:           8
        .value_kind:     global_buffer
      - .actual_access:  read_only
        .address_space:  global
        .offset:         16
        .size:           8
        .value_kind:     global_buffer
      - .actual_access:  read_only
        .address_space:  global
        .offset:         24
        .size:           8
        .value_kind:     global_buffer
      - .actual_access:  read_only
        .address_space:  global
        .offset:         32
        .size:           8
        .value_kind:     global_buffer
      - .offset:         40
        .size:           8
        .value_kind:     by_value
      - .address_space:  global
        .offset:         48
        .size:           8
        .value_kind:     global_buffer
      - .address_space:  global
        .offset:         56
        .size:           8
        .value_kind:     global_buffer
      - .address_space:  global
        .offset:         64
        .size:           8
        .value_kind:     global_buffer
      - .address_space:  global
        .offset:         72
        .size:           8
        .value_kind:     global_buffer
      - .offset:         80
        .size:           4
        .value_kind:     by_value
      - .address_space:  global
        .offset:         88
        .size:           8
        .value_kind:     global_buffer
      - .address_space:  global
        .offset:         96
        .size:           8
        .value_kind:     global_buffer
    .group_segment_fixed_size: 5040
    .kernarg_segment_align: 8
    .kernarg_segment_size: 104
    .language:       OpenCL C
    .language_version:
      - 2
      - 0
    .max_flat_workgroup_size: 63
    .name:           bluestein_single_fwd_len1260_dim1_half_op_CI_CI
    .private_segment_fixed_size: 0
    .sgpr_count:     22
    .sgpr_spill_count: 0
    .symbol:         bluestein_single_fwd_len1260_dim1_half_op_CI_CI.kd
    .uniform_work_group_size: 1
    .uses_dynamic_stack: false
    .vgpr_count:     229
    .vgpr_spill_count: 0
    .wavefront_size: 32
    .workgroup_processor_mode: 1
amdhsa.target:   amdgcn-amd-amdhsa--gfx1030
amdhsa.version:
  - 1
  - 2
...

	.end_amdgpu_metadata
